;; amdgpu-corpus repo=ROCm/rocFFT kind=compiled arch=gfx950 opt=O3
	.text
	.amdgcn_target "amdgcn-amd-amdhsa--gfx950"
	.amdhsa_code_object_version 6
	.protected	bluestein_single_fwd_len1683_dim1_half_op_CI_CI ; -- Begin function bluestein_single_fwd_len1683_dim1_half_op_CI_CI
	.globl	bluestein_single_fwd_len1683_dim1_half_op_CI_CI
	.p2align	8
	.type	bluestein_single_fwd_len1683_dim1_half_op_CI_CI,@function
bluestein_single_fwd_len1683_dim1_half_op_CI_CI: ; @bluestein_single_fwd_len1683_dim1_half_op_CI_CI
; %bb.0:
	s_load_dwordx4 s[4:7], s[0:1], 0x28
	v_mul_u32_u24_e32 v1, 0x506, v0
	v_mov_b32_e32 v19, 0
	v_add_u32_sdwa v22, s2, v1 dst_sel:DWORD dst_unused:UNUSED_PAD src0_sel:DWORD src1_sel:WORD_1
	v_mov_b32_e32 v23, v19
	s_waitcnt lgkmcnt(0)
	v_cmp_gt_u64_e32 vcc, s[4:5], v[22:23]
	s_and_saveexec_b64 s[2:3], vcc
	s_cbranch_execz .LBB0_15
; %bb.1:
	s_load_dwordx4 s[8:11], s[0:1], 0x18
	s_load_dwordx2 s[12:13], s[0:1], 0x0
	v_mov_b32_e32 v2, s6
	v_mov_b32_e32 v3, s7
	;; [unrolled: 1-line block ×3, first 2 shown]
	s_waitcnt lgkmcnt(0)
	s_load_dwordx4 s[4:7], s[8:9], 0x0
	v_mul_lo_u16_sdwa v1, v1, v4 dst_sel:DWORD dst_unused:UNUSED_PAD src0_sel:WORD_1 src1_sel:DWORD
	v_sub_u16_e32 v18, v0, v1
	v_lshlrev_b32_e32 v16, 2, v18
	global_load_dword v120, v16, s[12:13]
	s_waitcnt lgkmcnt(0)
	v_mad_u64_u32 v[0:1], s[2:3], s6, v22, 0
	v_mov_b32_e32 v4, v1
	v_mad_u64_u32 v[4:5], s[2:3], s7, v22, v[4:5]
	v_mov_b32_e32 v1, v4
	v_mad_u64_u32 v[4:5], s[2:3], s4, v18, 0
	v_mov_b32_e32 v6, v5
	v_mad_u64_u32 v[6:7], s[2:3], s5, v18, v[6:7]
	v_mov_b32_e32 v5, v6
	v_lshl_add_u64 v[0:1], v[0:1], 2, v[2:3]
	s_mul_i32 s2, s5, 0x63
	s_mul_hi_u32 s3, s4, 0x63
	v_lshl_add_u64 v[2:3], v[4:5], 2, v[0:1]
	s_add_i32 s3, s3, s2
	s_mul_i32 s2, s4, 0x63
	global_load_dword v6, v[2:3], off
	s_lshl_b64 s[6:7], s[2:3], 2
	v_lshl_add_u64 v[2:3], v[2:3], 0, s[6:7]
	global_load_dword v7, v[2:3], off
	global_load_dword v119, v16, s[12:13] offset:396
	v_lshl_add_u64 v[2:3], v[2:3], 0, s[6:7]
	global_load_dword v8, v[2:3], off
	global_load_dword v118, v16, s[12:13] offset:792
	v_lshl_add_u64 v[2:3], v[2:3], 0, s[6:7]
	global_load_dword v9, v[2:3], off
	global_load_dword v117, v16, s[12:13] offset:1188
	v_lshl_add_u64 v[2:3], v[2:3], 0, s[6:7]
	global_load_dword v10, v[2:3], off
	global_load_dword v116, v16, s[12:13] offset:1584
	v_lshl_add_u64 v[2:3], v[2:3], 0, s[6:7]
	global_load_dword v11, v[2:3], off
	global_load_dword v115, v16, s[12:13] offset:1980
	v_lshl_add_u64 v[2:3], v[2:3], 0, s[6:7]
	global_load_dword v12, v[2:3], off
	global_load_dword v114, v16, s[12:13] offset:2376
	v_lshl_add_u64 v[2:3], v[2:3], 0, s[6:7]
	v_lshl_add_u64 v[4:5], v[2:3], 0, s[6:7]
	s_load_dwordx4 s[8:11], s[10:11], 0x0
	global_load_dword v13, v[2:3], off
	global_load_dword v113, v16, s[12:13] offset:2772
	global_load_dword v112, v16, s[12:13] offset:3168
	;; [unrolled: 1-line block ×4, first 2 shown]
	global_load_dword v14, v[4:5], off
	v_lshl_add_u64 v[4:5], v[4:5], 0, s[6:7]
	global_load_dword v15, v[4:5], off
	v_lshl_add_u64 v[4:5], v[4:5], 0, s[6:7]
	v_mov_b32_e32 v17, v19
	global_load_dword v24, v[4:5], off
	s_movk_i32 s14, 0x1000
	v_lshl_add_u64 v[20:21], s[12:13], 0, v[16:17]
	v_add_co_u32_e32 v2, vcc, s14, v20
	v_lshl_add_u64 v[4:5], v[4:5], 0, s[6:7]
	s_nop 0
	v_addc_co_u32_e32 v3, vcc, 0, v21, vcc
	global_load_dword v25, v[4:5], off
	global_load_dword v109, v[2:3], off offset:260
	global_load_dword v108, v[2:3], off offset:656
	;; [unrolled: 1-line block ×3, first 2 shown]
	v_lshl_add_u64 v[4:5], v[4:5], 0, s[6:7]
	global_load_dword v26, v[4:5], off
	v_lshl_add_u64 v[4:5], v[4:5], 0, s[6:7]
	global_load_dword v27, v[4:5], off
	v_lshl_add_u64 v[4:5], v[4:5], 0, s[6:7]
	s_load_dwordx2 s[2:3], s[0:1], 0x38
	v_cmp_gt_u16_e32 vcc, 48, v18
	s_waitcnt vmcnt(26)
	v_lshrrev_b32_e32 v17, 16, v6
	v_mul_f16_sdwa v23, v120, v6 dst_sel:DWORD dst_unused:UNUSED_PAD src0_sel:WORD_1 src1_sel:DWORD
	v_mul_f16_sdwa v28, v120, v17 dst_sel:DWORD dst_unused:UNUSED_PAD src0_sel:WORD_1 src1_sel:DWORD
	v_fma_f16 v17, v120, v17, -v23
	s_waitcnt vmcnt(25)
	v_lshrrev_b32_e32 v23, 16, v7
	s_waitcnt vmcnt(24)
	v_mul_f16_sdwa v29, v119, v7 dst_sel:DWORD dst_unused:UNUSED_PAD src0_sel:WORD_1 src1_sel:DWORD
	v_fma_f16 v6, v120, v6, v28
	v_mul_f16_sdwa v28, v119, v23 dst_sel:DWORD dst_unused:UNUSED_PAD src0_sel:WORD_1 src1_sel:DWORD
	v_fma_f16 v23, v119, v23, -v29
	s_waitcnt vmcnt(23)
	v_lshrrev_b32_e32 v29, 16, v8
	s_waitcnt vmcnt(22)
	v_mul_f16_sdwa v30, v118, v8 dst_sel:DWORD dst_unused:UNUSED_PAD src0_sel:WORD_1 src1_sel:DWORD
	v_fma_f16 v7, v119, v7, v28
	v_pack_b32_f16 v6, v6, v17
	v_mul_f16_sdwa v17, v118, v29 dst_sel:DWORD dst_unused:UNUSED_PAD src0_sel:WORD_1 src1_sel:DWORD
	v_fma_f16 v28, v118, v29, -v30
	s_waitcnt vmcnt(21)
	v_lshrrev_b32_e32 v29, 16, v9
	v_pack_b32_f16 v7, v7, v23
	s_waitcnt vmcnt(20)
	v_mul_f16_sdwa v30, v117, v9 dst_sel:DWORD dst_unused:UNUSED_PAD src0_sel:WORD_1 src1_sel:DWORD
	v_fma_f16 v8, v118, v8, v17
	v_mul_f16_sdwa v17, v117, v29 dst_sel:DWORD dst_unused:UNUSED_PAD src0_sel:WORD_1 src1_sel:DWORD
	ds_write2_b32 v16, v6, v7 offset1:99
	v_fma_f16 v23, v117, v29, -v30
	v_pack_b32_f16 v7, v8, v28
	v_fma_f16 v6, v117, v9, v17
	global_load_dword v28, v[4:5], off
	global_load_dword v106, v[2:3], off offset:1448
	v_pack_b32_f16 v8, v6, v23
	v_add_u32_e32 v6, 0x200, v16
	ds_write2_b32 v6, v7, v8 offset0:70 offset1:169
	v_lshl_add_u64 v[4:5], v[4:5], 0, s[6:7]
	global_load_dword v29, v[4:5], off
	global_load_dword v23, v[2:3], off offset:1844
	v_lshl_add_u64 v[4:5], v[4:5], 0, s[6:7]
	global_load_dword v30, v[4:5], off
	global_load_dword v17, v[2:3], off offset:2240
	s_waitcnt vmcnt(25)
	v_lshrrev_b32_e32 v7, 16, v10
	s_waitcnt vmcnt(24)
	v_mul_f16_sdwa v8, v116, v7 dst_sel:DWORD dst_unused:UNUSED_PAD src0_sel:WORD_1 src1_sel:DWORD
	v_mul_f16_sdwa v9, v116, v10 dst_sel:DWORD dst_unused:UNUSED_PAD src0_sel:WORD_1 src1_sel:DWORD
	v_fma_f16 v8, v116, v10, v8
	v_fma_f16 v7, v116, v7, -v9
	v_pack_b32_f16 v8, v8, v7
	s_waitcnt vmcnt(23)
	v_lshrrev_b32_e32 v7, 16, v11
	s_waitcnt vmcnt(22)
	v_mul_f16_sdwa v9, v115, v7 dst_sel:DWORD dst_unused:UNUSED_PAD src0_sel:WORD_1 src1_sel:DWORD
	v_mul_f16_sdwa v10, v115, v11 dst_sel:DWORD dst_unused:UNUSED_PAD src0_sel:WORD_1 src1_sel:DWORD
	v_fma_f16 v9, v115, v11, v9
	v_fma_f16 v7, v115, v7, -v10
	v_pack_b32_f16 v9, v9, v7
	v_add_u32_e32 v7, 0x400, v16
	ds_write2_b32 v7, v8, v9 offset0:140 offset1:239
	s_waitcnt vmcnt(21)
	v_lshrrev_b32_e32 v8, 16, v12
	s_waitcnt vmcnt(20)
	v_mul_f16_sdwa v9, v114, v8 dst_sel:DWORD dst_unused:UNUSED_PAD src0_sel:WORD_1 src1_sel:DWORD
	v_mul_f16_sdwa v10, v114, v12 dst_sel:DWORD dst_unused:UNUSED_PAD src0_sel:WORD_1 src1_sel:DWORD
	v_fma_f16 v9, v114, v12, v9
	v_fma_f16 v8, v114, v8, -v10
	v_pack_b32_f16 v9, v9, v8
	s_waitcnt vmcnt(19)
	v_lshrrev_b32_e32 v8, 16, v13
	s_waitcnt vmcnt(18)
	v_mul_f16_sdwa v10, v113, v8 dst_sel:DWORD dst_unused:UNUSED_PAD src0_sel:WORD_1 src1_sel:DWORD
	v_mul_f16_sdwa v11, v113, v13 dst_sel:DWORD dst_unused:UNUSED_PAD src0_sel:WORD_1 src1_sel:DWORD
	v_fma_f16 v10, v113, v13, v10
	v_fma_f16 v8, v113, v8, -v11
	v_pack_b32_f16 v10, v10, v8
	v_add_u32_e32 v8, 0x800, v16
	ds_write2_b32 v8, v9, v10 offset0:82 offset1:181
	s_waitcnt vmcnt(14)
	v_lshrrev_b32_e32 v9, 16, v14
	v_mul_f16_sdwa v10, v112, v9 dst_sel:DWORD dst_unused:UNUSED_PAD src0_sel:WORD_1 src1_sel:DWORD
	v_mul_f16_sdwa v11, v112, v14 dst_sel:DWORD dst_unused:UNUSED_PAD src0_sel:WORD_1 src1_sel:DWORD
	v_fma_f16 v10, v112, v14, v10
	v_fma_f16 v9, v112, v9, -v11
	v_pack_b32_f16 v10, v10, v9
	s_waitcnt vmcnt(13)
	v_lshrrev_b32_e32 v9, 16, v15
	v_mul_f16_sdwa v11, v111, v9 dst_sel:DWORD dst_unused:UNUSED_PAD src0_sel:WORD_1 src1_sel:DWORD
	v_mul_f16_sdwa v12, v111, v15 dst_sel:DWORD dst_unused:UNUSED_PAD src0_sel:WORD_1 src1_sel:DWORD
	v_fma_f16 v11, v111, v15, v11
	v_fma_f16 v9, v111, v9, -v12
	v_pack_b32_f16 v11, v11, v9
	v_add_u32_e32 v9, 0xc00, v16
	ds_write2_b32 v9, v10, v11 offset0:24 offset1:123
	s_waitcnt vmcnt(12)
	v_lshrrev_b32_e32 v10, 16, v24
	v_mul_f16_sdwa v11, v110, v10 dst_sel:DWORD dst_unused:UNUSED_PAD src0_sel:WORD_1 src1_sel:DWORD
	v_mul_f16_sdwa v12, v110, v24 dst_sel:DWORD dst_unused:UNUSED_PAD src0_sel:WORD_1 src1_sel:DWORD
	v_fma_f16 v11, v110, v24, v11
	v_fma_f16 v10, v110, v10, -v12
	v_pack_b32_f16 v11, v11, v10
	s_waitcnt vmcnt(11)
	v_lshrrev_b32_e32 v10, 16, v25
	s_waitcnt vmcnt(10)
	v_mul_f16_sdwa v12, v109, v10 dst_sel:DWORD dst_unused:UNUSED_PAD src0_sel:WORD_1 src1_sel:DWORD
	v_mul_f16_sdwa v13, v109, v25 dst_sel:DWORD dst_unused:UNUSED_PAD src0_sel:WORD_1 src1_sel:DWORD
	v_fma_f16 v12, v109, v25, v12
	v_fma_f16 v10, v109, v10, -v13
	v_pack_b32_f16 v12, v12, v10
	v_add_u32_e32 v10, 0xe00, v16
	ds_write2_b32 v10, v11, v12 offset0:94 offset1:193
	s_waitcnt vmcnt(7)
	v_lshrrev_b32_e32 v11, 16, v26
	v_mul_f16_sdwa v12, v108, v11 dst_sel:DWORD dst_unused:UNUSED_PAD src0_sel:WORD_1 src1_sel:DWORD
	v_mul_f16_sdwa v13, v108, v26 dst_sel:DWORD dst_unused:UNUSED_PAD src0_sel:WORD_1 src1_sel:DWORD
	v_fma_f16 v12, v108, v26, v12
	v_fma_f16 v11, v108, v11, -v13
	v_pack_b32_f16 v12, v12, v11
	s_waitcnt vmcnt(6)
	v_lshrrev_b32_e32 v11, 16, v27
	v_mul_f16_sdwa v13, v107, v11 dst_sel:DWORD dst_unused:UNUSED_PAD src0_sel:WORD_1 src1_sel:DWORD
	v_mul_f16_sdwa v14, v107, v27 dst_sel:DWORD dst_unused:UNUSED_PAD src0_sel:WORD_1 src1_sel:DWORD
	v_fma_f16 v13, v107, v27, v13
	v_fma_f16 v11, v107, v11, -v14
	v_pack_b32_f16 v13, v13, v11
	v_add_u32_e32 v11, 0x1200, v16
	ds_write2_b32 v11, v12, v13 offset0:36 offset1:135
	s_waitcnt vmcnt(5)
	v_lshrrev_b32_e32 v12, 16, v28
	s_waitcnt vmcnt(4)
	v_mul_f16_sdwa v13, v106, v12 dst_sel:DWORD dst_unused:UNUSED_PAD src0_sel:WORD_1 src1_sel:DWORD
	v_mul_f16_sdwa v14, v106, v28 dst_sel:DWORD dst_unused:UNUSED_PAD src0_sel:WORD_1 src1_sel:DWORD
	v_fma_f16 v13, v106, v28, v13
	v_fma_f16 v12, v106, v12, -v14
	v_pack_b32_f16 v13, v13, v12
	s_waitcnt vmcnt(3)
	v_lshrrev_b32_e32 v12, 16, v29
	s_waitcnt vmcnt(2)
	v_mul_f16_sdwa v14, v23, v12 dst_sel:DWORD dst_unused:UNUSED_PAD src0_sel:WORD_1 src1_sel:DWORD
	v_mul_f16_sdwa v15, v23, v29 dst_sel:DWORD dst_unused:UNUSED_PAD src0_sel:WORD_1 src1_sel:DWORD
	v_fma_f16 v14, v23, v29, v14
	v_fma_f16 v12, v23, v12, -v15
	v_pack_b32_f16 v14, v14, v12
	v_add_u32_e32 v12, 0x1400, v16
	ds_write2_b32 v12, v13, v14 offset0:106 offset1:205
	s_waitcnt vmcnt(1)
	v_lshrrev_b32_e32 v13, 16, v30
	s_waitcnt vmcnt(0)
	v_mul_f16_sdwa v14, v17, v13 dst_sel:DWORD dst_unused:UNUSED_PAD src0_sel:WORD_1 src1_sel:DWORD
	v_mul_f16_sdwa v15, v17, v30 dst_sel:DWORD dst_unused:UNUSED_PAD src0_sel:WORD_1 src1_sel:DWORD
	v_fma_f16 v14, v17, v30, v14
	v_fma_f16 v13, v17, v13, -v15
	v_pack_b32_f16 v13, v14, v13
	ds_write_b32 v16, v13 offset:6336
	s_and_saveexec_b64 s[14:15], vcc
	s_cbranch_execz .LBB0_3
; %bb.2:
	v_mov_b32_e32 v13, 0xffffe80c
	v_mad_u64_u32 v[4:5], s[16:17], s4, v13, v[4:5]
	s_mul_i32 s16, s5, 0xffffe80c
	s_sub_i32 s16, s16, s4
	v_add_u32_e32 v5, s16, v5
	global_load_dword v13, v[4:5], off
	global_load_dword v26, v[20:21], off offset:204
	v_lshl_add_u64 v[4:5], v[4:5], 0, s[6:7]
	global_load_dword v27, v[4:5], off
	global_load_dword v28, v[20:21], off offset:600
	v_lshl_add_u64 v[4:5], v[4:5], 0, s[6:7]
	;; [unrolled: 3-line block ×5, first 2 shown]
	global_load_dword v35, v[4:5], off
	global_load_dword v36, v[20:21], off offset:2184
	global_load_dword v37, v[20:21], off offset:2580
	;; [unrolled: 1-line block ×3, first 2 shown]
	v_lshl_add_u64 v[4:5], v[4:5], 0, s[6:7]
	global_load_dword v40, v[4:5], off
	v_or_b32_e32 v25, 0x600, v18
	v_lshl_add_u64 v[4:5], v[4:5], 0, s[6:7]
	v_mad_u64_u32 v[14:15], s[16:17], s4, v25, 0
	v_lshlrev_b32_e32 v41, 2, v25
	global_load_dword v42, v[4:5], off
	global_load_dword v43, v41, s[12:13]
	v_mov_b32_e32 v24, v15
	v_mad_u64_u32 v[24:25], s[16:17], s5, v25, v[24:25]
	v_mov_b32_e32 v15, v24
	v_lshl_add_u64 v[0:1], v[14:15], 2, v[0:1]
	v_lshl_add_u64 v[4:5], v[4:5], 0, s[6:7]
	global_load_dword v14, v[4:5], off
	global_load_dword v15, v[20:21], off offset:3372
	global_load_dword v24, v[0:1], off
	v_lshl_add_u64 v[0:1], v[4:5], 0, s[6:7]
	global_load_dword v4, v[0:1], off
	v_lshl_add_u64 v[0:1], v[0:1], 0, s[6:7]
	global_load_dword v5, v[0:1], off
	global_load_dword v25, v[20:21], off offset:3768
	v_lshl_add_u64 v[0:1], v[0:1], 0, s[6:7]
	global_load_dword v41, v[0:1], off
	v_lshl_add_u64 v[0:1], v[0:1], 0, s[6:7]
	global_load_dword v44, v[0:1], off
	;; [unrolled: 2-line block ×3, first 2 shown]
	global_load_dword v46, v[2:3], off offset:68
	global_load_dword v51, v[2:3], off offset:464
	v_lshl_add_u64 v[0:1], v[0:1], 0, s[6:7]
	global_load_dword v47, v[0:1], off
	v_mov_b32_e32 v39, 0x318
	v_mad_u64_u32 v[0:1], s[6:7], s4, v39, v[0:1]
	s_mul_i32 s4, s5, 0x318
	v_add_u32_e32 v1, s4, v1
	s_waitcnt vmcnt(28)
	v_lshrrev_b32_e32 v48, 16, v13
	s_waitcnt vmcnt(27)
	v_mul_f16_sdwa v49, v26, v13 dst_sel:DWORD dst_unused:UNUSED_PAD src0_sel:WORD_1 src1_sel:DWORD
	v_mul_f16_sdwa v50, v26, v48 dst_sel:DWORD dst_unused:UNUSED_PAD src0_sel:WORD_1 src1_sel:DWORD
	v_fma_f16 v48, v26, v48, -v49
	s_waitcnt vmcnt(26)
	v_lshrrev_b32_e32 v49, 16, v27
	s_waitcnt vmcnt(25)
	v_mul_f16_sdwa v52, v28, v27 dst_sel:DWORD dst_unused:UNUSED_PAD src0_sel:WORD_1 src1_sel:DWORD
	v_fma_f16 v13, v26, v13, v50
	v_mul_f16_sdwa v26, v28, v49 dst_sel:DWORD dst_unused:UNUSED_PAD src0_sel:WORD_1 src1_sel:DWORD
	v_fma_f16 v49, v28, v49, -v52
	global_load_dword v52, v[2:3], off offset:860
	v_pack_b32_f16 v13, v13, v48
	global_load_dword v48, v[2:3], off offset:1256
	v_fma_f16 v26, v28, v27, v26
	v_pack_b32_f16 v26, v26, v49
	global_load_dword v49, v[2:3], off offset:1652
	s_waitcnt vmcnt(27)
	v_lshrrev_b32_e32 v50, 16, v29
	s_waitcnt vmcnt(26)
	v_mul_f16_sdwa v53, v30, v29 dst_sel:DWORD dst_unused:UNUSED_PAD src0_sel:WORD_1 src1_sel:DWORD
	v_mul_f16_sdwa v27, v30, v50 dst_sel:DWORD dst_unused:UNUSED_PAD src0_sel:WORD_1 src1_sel:DWORD
	v_fma_f16 v28, v30, v50, -v53
	s_waitcnt vmcnt(25)
	v_lshrrev_b32_e32 v50, 16, v31
	s_waitcnt vmcnt(24)
	v_mul_f16_sdwa v53, v32, v31 dst_sel:DWORD dst_unused:UNUSED_PAD src0_sel:WORD_1 src1_sel:DWORD
	v_fma_f16 v27, v30, v29, v27
	v_mul_f16_sdwa v29, v32, v50 dst_sel:DWORD dst_unused:UNUSED_PAD src0_sel:WORD_1 src1_sel:DWORD
	v_fma_f16 v30, v32, v50, -v53
	ds_write2_b32 v16, v13, v26 offset0:51 offset1:150
	v_fma_f16 v26, v32, v31, v29
	v_pack_b32_f16 v13, v27, v28
	v_pack_b32_f16 v26, v26, v30
	ds_write2_b32 v6, v13, v26 offset0:121 offset1:220
	global_load_dword v13, v[0:1], off
	global_load_dword v26, v[2:3], off offset:2444
	s_waitcnt vmcnt(25)
	v_lshrrev_b32_e32 v50, 16, v33
	s_waitcnt vmcnt(23)
	v_lshrrev_b32_e32 v1, 16, v35
	v_mul_f16_sdwa v27, v34, v50 dst_sel:DWORD dst_unused:UNUSED_PAD src0_sel:WORD_1 src1_sel:DWORD
	v_mul_f16_sdwa v0, v34, v33 dst_sel:DWORD dst_unused:UNUSED_PAD src0_sel:WORD_1 src1_sel:DWORD
	s_waitcnt vmcnt(22)
	v_mul_f16_sdwa v2, v36, v1 dst_sel:DWORD dst_unused:UNUSED_PAD src0_sel:WORD_1 src1_sel:DWORD
	v_mul_f16_sdwa v3, v36, v35 dst_sel:DWORD dst_unused:UNUSED_PAD src0_sel:WORD_1 src1_sel:DWORD
	v_fma_f16 v27, v34, v33, v27
	v_fma_f16 v0, v34, v50, -v0
	v_fma_f16 v2, v36, v35, v2
	v_fma_f16 v1, v36, v1, -v3
	v_pack_b32_f16 v0, v27, v0
	v_pack_b32_f16 v1, v2, v1
	v_add_u32_e32 v2, 0x600, v16
	ds_write2_b32 v2, v0, v1 offset0:63 offset1:162
	s_waitcnt vmcnt(19)
	v_lshrrev_b32_e32 v0, 16, v40
	v_mul_f16_sdwa v1, v37, v0 dst_sel:DWORD dst_unused:UNUSED_PAD src0_sel:WORD_1 src1_sel:DWORD
	v_mul_f16_sdwa v2, v37, v40 dst_sel:DWORD dst_unused:UNUSED_PAD src0_sel:WORD_1 src1_sel:DWORD
	v_fma_f16 v1, v37, v40, v1
	v_fma_f16 v0, v37, v0, -v2
	v_pack_b32_f16 v0, v1, v0
	s_waitcnt vmcnt(18)
	v_lshrrev_b32_e32 v1, 16, v42
	v_mul_f16_sdwa v2, v38, v1 dst_sel:DWORD dst_unused:UNUSED_PAD src0_sel:WORD_1 src1_sel:DWORD
	v_mul_f16_sdwa v3, v38, v42 dst_sel:DWORD dst_unused:UNUSED_PAD src0_sel:WORD_1 src1_sel:DWORD
	v_fma_f16 v2, v38, v42, v2
	v_fma_f16 v1, v38, v1, -v3
	v_pack_b32_f16 v1, v2, v1
	ds_write2_b32 v8, v0, v1 offset0:133 offset1:232
	s_waitcnt vmcnt(16)
	v_lshrrev_b32_e32 v0, 16, v14
	s_waitcnt vmcnt(15)
	v_mul_f16_sdwa v1, v15, v0 dst_sel:DWORD dst_unused:UNUSED_PAD src0_sel:WORD_1 src1_sel:DWORD
	v_mul_f16_sdwa v2, v15, v14 dst_sel:DWORD dst_unused:UNUSED_PAD src0_sel:WORD_1 src1_sel:DWORD
	v_fma_f16 v1, v15, v14, v1
	v_fma_f16 v0, v15, v0, -v2
	v_pack_b32_f16 v0, v1, v0
	s_waitcnt vmcnt(13)
	v_lshrrev_b32_e32 v1, 16, v4
	s_waitcnt vmcnt(11)
	v_mul_f16_sdwa v2, v25, v1 dst_sel:DWORD dst_unused:UNUSED_PAD src0_sel:WORD_1 src1_sel:DWORD
	v_mul_f16_sdwa v3, v25, v4 dst_sel:DWORD dst_unused:UNUSED_PAD src0_sel:WORD_1 src1_sel:DWORD
	v_fma_f16 v2, v25, v4, v2
	v_fma_f16 v1, v25, v1, -v3
	v_pack_b32_f16 v1, v2, v1
	ds_write2_b32 v9, v0, v1 offset0:75 offset1:174
	v_lshrrev_b32_e32 v0, 16, v5
	s_waitcnt vmcnt(7)
	v_mul_f16_sdwa v1, v46, v0 dst_sel:DWORD dst_unused:UNUSED_PAD src0_sel:WORD_1 src1_sel:DWORD
	v_mul_f16_sdwa v2, v46, v5 dst_sel:DWORD dst_unused:UNUSED_PAD src0_sel:WORD_1 src1_sel:DWORD
	v_fma_f16 v1, v46, v5, v1
	v_fma_f16 v0, v46, v0, -v2
	v_pack_b32_f16 v0, v1, v0
	v_lshrrev_b32_e32 v1, 16, v41
	s_waitcnt vmcnt(6)
	v_mul_f16_sdwa v2, v51, v1 dst_sel:DWORD dst_unused:UNUSED_PAD src0_sel:WORD_1 src1_sel:DWORD
	v_mul_f16_sdwa v3, v51, v41 dst_sel:DWORD dst_unused:UNUSED_PAD src0_sel:WORD_1 src1_sel:DWORD
	v_fma_f16 v2, v51, v41, v2
	v_fma_f16 v1, v51, v1, -v3
	v_pack_b32_f16 v1, v2, v1
	v_add_u32_e32 v2, 0x1000, v16
	ds_write2_b32 v2, v0, v1 offset0:17 offset1:116
	v_lshrrev_b32_e32 v0, 16, v44
	s_waitcnt vmcnt(4)
	v_mul_f16_sdwa v1, v52, v0 dst_sel:DWORD dst_unused:UNUSED_PAD src0_sel:WORD_1 src1_sel:DWORD
	v_mul_f16_sdwa v2, v52, v44 dst_sel:DWORD dst_unused:UNUSED_PAD src0_sel:WORD_1 src1_sel:DWORD
	v_fma_f16 v1, v52, v44, v1
	v_fma_f16 v0, v52, v0, -v2
	v_pack_b32_f16 v0, v1, v0
	v_lshrrev_b32_e32 v1, 16, v45
	s_waitcnt vmcnt(3)
	v_mul_f16_sdwa v2, v48, v1 dst_sel:DWORD dst_unused:UNUSED_PAD src0_sel:WORD_1 src1_sel:DWORD
	v_mul_f16_sdwa v3, v48, v45 dst_sel:DWORD dst_unused:UNUSED_PAD src0_sel:WORD_1 src1_sel:DWORD
	v_fma_f16 v2, v48, v45, v2
	v_fma_f16 v1, v48, v1, -v3
	v_pack_b32_f16 v1, v2, v1
	ds_write2_b32 v11, v0, v1 offset0:87 offset1:186
	v_lshrrev_b32_e32 v0, 16, v47
	s_waitcnt vmcnt(2)
	v_mul_f16_sdwa v1, v49, v0 dst_sel:DWORD dst_unused:UNUSED_PAD src0_sel:WORD_1 src1_sel:DWORD
	v_mul_f16_sdwa v2, v49, v47 dst_sel:DWORD dst_unused:UNUSED_PAD src0_sel:WORD_1 src1_sel:DWORD
	v_fma_f16 v1, v49, v47, v1
	v_fma_f16 v0, v49, v0, -v2
	v_pack_b32_f16 v0, v1, v0
	v_lshrrev_b32_e32 v1, 16, v24
	v_mul_f16_sdwa v2, v43, v1 dst_sel:DWORD dst_unused:UNUSED_PAD src0_sel:WORD_1 src1_sel:DWORD
	v_mul_f16_sdwa v3, v43, v24 dst_sel:DWORD dst_unused:UNUSED_PAD src0_sel:WORD_1 src1_sel:DWORD
	v_fma_f16 v2, v43, v24, v2
	v_fma_f16 v1, v43, v1, -v3
	v_pack_b32_f16 v1, v2, v1
	v_add_u32_e32 v2, 0x1600, v16
	ds_write2_b32 v2, v0, v1 offset0:29 offset1:128
	s_waitcnt vmcnt(1)
	v_lshrrev_b32_e32 v0, 16, v13
	s_waitcnt vmcnt(0)
	v_mul_f16_sdwa v1, v26, v0 dst_sel:DWORD dst_unused:UNUSED_PAD src0_sel:WORD_1 src1_sel:DWORD
	v_mul_f16_sdwa v2, v26, v13 dst_sel:DWORD dst_unused:UNUSED_PAD src0_sel:WORD_1 src1_sel:DWORD
	v_fma_f16 v1, v26, v13, v1
	v_fma_f16 v0, v26, v0, -v2
	v_pack_b32_f16 v0, v1, v0
	ds_write_b32 v16, v0 offset:6540
.LBB0_3:
	s_or_b64 exec, exec, s[14:15]
	s_waitcnt lgkmcnt(0)
	; wave barrier
	s_waitcnt lgkmcnt(0)
	ds_read2_b32 v[26:27], v16 offset1:99
	ds_read2_b32 v[36:37], v6 offset0:70 offset1:169
	ds_read2_b32 v[32:33], v7 offset0:140 offset1:239
	;; [unrolled: 1-line block ×7, first 2 shown]
	ds_read_b32 v57, v16 offset:6336
	s_load_dwordx2 s[0:1], s[0:1], 0x8
	v_mov_b32_e32 v0, 0
                                        ; implicit-def: $vgpr3
                                        ; implicit-def: $vgpr47
                                        ; implicit-def: $vgpr4
                                        ; implicit-def: $vgpr51
                                        ; implicit-def: $vgpr52
                                        ; implicit-def: $vgpr6
                                        ; implicit-def: $vgpr53
                                        ; implicit-def: $vgpr54
                                        ; implicit-def: $vgpr56
                                        ; implicit-def: $vgpr55
                                        ; implicit-def: $vgpr45
                                        ; implicit-def: $vgpr9
                                        ; implicit-def: $vgpr46
                                        ; implicit-def: $vgpr48
                                        ; implicit-def: $vgpr11
                                        ; implicit-def: $vgpr49
                                        ; implicit-def: $vgpr50
                                        ; implicit-def: $vgpr13
                                        ; implicit-def: $vgpr40
                                        ; implicit-def: $vgpr41
                                        ; implicit-def: $vgpr15
                                        ; implicit-def: $vgpr42
                                        ; implicit-def: $vgpr43
                                        ; implicit-def: $vgpr44
	s_and_saveexec_b64 s[4:5], vcc
	s_cbranch_execz .LBB0_5
; %bb.4:
	v_add_u32_e32 v2, 0x200, v16
	ds_read2_b32 v[14:15], v2 offset0:121 offset1:220
	v_add_u32_e32 v2, 0x600, v16
	ds_read2_b32 v[12:13], v2 offset0:63 offset1:162
	v_add_u32_e32 v2, 0x800, v16
	ds_read2_b32 v[10:11], v2 offset0:133 offset1:232
	v_add_u32_e32 v2, 0xc00, v16
	ds_read2_b32 v[8:9], v2 offset0:75 offset1:174
	v_add_u32_e32 v2, 0x1000, v16
	v_add_u32_e32 v4, 0x1200, v16
	;; [unrolled: 1-line block ×3, first 2 shown]
	ds_read2_b32 v[0:1], v16 offset0:51 offset1:150
	ds_read2_b32 v[2:3], v2 offset0:17 offset1:116
	;; [unrolled: 1-line block ×4, first 2 shown]
	ds_read_b32 v56, v16 offset:6540
	s_waitcnt lgkmcnt(0)
	v_lshrrev_b32_e32 v44, 16, v1
	v_lshrrev_b32_e32 v43, 16, v14
	;; [unrolled: 1-line block ×16, first 2 shown]
.LBB0_5:
	s_or_b64 exec, exec, s[4:5]
	s_waitcnt lgkmcnt(0)
	v_add_f16_e32 v58, v26, v27
	v_add_f16_sdwa v59, v26, v27 dst_sel:DWORD dst_unused:UNUSED_PAD src0_sel:WORD_1 src1_sel:WORD_1
	v_add_f16_e32 v58, v58, v36
	v_add_f16_sdwa v59, v59, v36 dst_sel:DWORD dst_unused:UNUSED_PAD src0_sel:DWORD src1_sel:WORD_1
	v_add_f16_e32 v58, v58, v37
	v_add_f16_sdwa v59, v59, v37 dst_sel:DWORD dst_unused:UNUSED_PAD src0_sel:DWORD src1_sel:WORD_1
	;; [unrolled: 2-line block ×11, first 2 shown]
	v_sub_f16_sdwa v79, v27, v57 dst_sel:DWORD dst_unused:UNUSED_PAD src0_sel:WORD_1 src1_sel:WORD_1
	v_add_f16_e32 v58, v58, v35
	v_add_f16_sdwa v59, v59, v35 dst_sel:DWORD dst_unused:UNUSED_PAD src0_sel:DWORD src1_sel:WORD_1
	v_add_f16_e32 v78, v57, v27
	v_mul_f16_e32 v60, 0xb5c8, v79
	s_movk_i32 s6, 0x3b76
	v_add_f16_e32 v58, v58, v38
	v_add_f16_sdwa v59, v59, v38 dst_sel:DWORD dst_unused:UNUSED_PAD src0_sel:DWORD src1_sel:WORD_1
	v_fma_f16 v65, v78, s6, -v60
	v_fma_f16 v68, v78, s6, v60
	v_mul_f16_e32 v60, 0xb964, v79
	s_movk_i32 s7, 0x39e9
	v_mul_f16_e32 v80, 0xbb29, v79
	s_movk_i32 s14, 0x3722
	v_add_f16_e32 v58, v58, v39
	v_add_f16_sdwa v59, v59, v39 dst_sel:DWORD dst_unused:UNUSED_PAD src0_sel:DWORD src1_sel:WORD_1
	v_fma_f16 v71, v78, s7, -v60
	v_fma_f16 v72, v78, s7, v60
	v_add_f16_e32 v61, v39, v36
	v_add_f16_sdwa v60, v39, v36 dst_sel:DWORD dst_unused:UNUSED_PAD src0_sel:WORD_1 src1_sel:WORD_1
	v_sub_f16_e32 v62, v36, v39
	v_sub_f16_sdwa v63, v36, v39 dst_sel:DWORD dst_unused:UNUSED_PAD src0_sel:WORD_1 src1_sel:WORD_1
	v_add_f16_e32 v39, v38, v37
	v_add_f16_sdwa v36, v38, v37 dst_sel:DWORD dst_unused:UNUSED_PAD src0_sel:WORD_1 src1_sel:WORD_1
	v_sub_f16_e32 v64, v37, v38
	v_sub_f16_sdwa v66, v37, v38 dst_sel:DWORD dst_unused:UNUSED_PAD src0_sel:WORD_1 src1_sel:WORD_1
	;; [unrolled: 4-line block ×6, first 2 shown]
	v_fma_f16 v28, v78, s14, -v80
	v_fma_f16 v29, v78, s14, v80
	v_mul_f16_e32 v80, 0xbbf7, v79
	s_movk_i32 s16, 0x2de8
	s_mov_b32 s15, 0xb461
	v_mul_f16_e32 v82, 0xbbb2, v79
	s_mov_b32 s17, 0xb8d2
	v_mul_f16_e32 v84, 0xba62, v79
	s_mov_b32 s18, 0xbacd
	v_mul_f16_e32 v86, 0xb836, v79
	v_mul_f16_e32 v79, 0xb1e1, v79
	s_mov_b32 s19, 0xbbdd
	v_fma_f16 v81, v78, s16, -v80
	v_fma_f16 v80, v78, s16, v80
	v_fma_f16 v83, v78, s15, -v82
	v_fma_f16 v82, v78, s15, v82
	;; [unrolled: 2-line block ×5, first 2 shown]
	v_add_f16_sdwa v79, v57, v27 dst_sel:DWORD dst_unused:UNUSED_PAD src0_sel:WORD_1 src1_sel:WORD_1
	v_sub_f16_e32 v27, v27, v57
	v_mul_f16_e32 v89, 0xb5c8, v27
	v_mul_f16_e32 v91, 0xb964, v27
	;; [unrolled: 1-line block ×8, first 2 shown]
	v_fma_f16 v90, v79, s6, v89
	v_fma_f16 v89, v79, s6, -v89
	v_fma_f16 v92, v79, s7, v91
	v_fma_f16 v91, v79, s7, -v91
	;; [unrolled: 2-line block ×8, first 2 shown]
	v_add_f16_e32 v65, v26, v65
	v_add_f16_sdwa v79, v26, v90 dst_sel:DWORD dst_unused:UNUSED_PAD src0_sel:WORD_1 src1_sel:DWORD
	v_add_f16_e32 v68, v26, v68
	v_add_f16_sdwa v89, v26, v89 dst_sel:DWORD dst_unused:UNUSED_PAD src0_sel:WORD_1 src1_sel:DWORD
	;; [unrolled: 2-line block ×16, first 2 shown]
	v_mul_f16_e32 v27, 0xb964, v63
	v_add_f16_e32 v28, v58, v57
	v_add_f16_sdwa v29, v59, v57 dst_sel:DWORD dst_unused:UNUSED_PAD src0_sel:DWORD src1_sel:WORD_1
	v_fma_f16 v57, v61, s7, -v27
	v_add_f16_e32 v57, v57, v65
	v_fma_f16 v27, v61, s7, v27
	v_mul_f16_e32 v65, 0xbbf7, v63
	v_mul_f16_e32 v58, 0xb964, v62
	v_add_f16_e32 v27, v27, v68
	v_fma_f16 v68, v61, s16, -v65
	v_fma_f16 v59, v60, s7, v58
	v_add_f16_e32 v68, v68, v71
	v_mul_f16_e32 v71, 0xbbf7, v62
	v_fma_f16 v65, v61, s16, v65
	v_add_f16_e32 v59, v59, v79
	v_fma_f16 v58, v60, s7, -v58
	v_fma_f16 v79, v60, s16, v71
	v_add_f16_e32 v65, v65, v72
	v_mul_f16_e32 v72, 0xba62, v63
	v_add_f16_e32 v58, v58, v89
	v_add_f16_e32 v79, v79, v90
	v_fma_f16 v71, v60, s16, -v71
	v_fma_f16 v89, v61, s17, -v72
	v_mul_f16_e32 v90, 0xba62, v62
	v_add_f16_e32 v71, v71, v91
	v_add_f16_e32 v89, v89, v92
	v_fma_f16 v91, v60, s17, v90
	v_fma_f16 v90, v60, s17, -v90
	v_mul_f16_e32 v92, 0xb1e1, v63
	v_add_f16_e32 v90, v90, v93
	v_fma_f16 v93, v61, s19, -v92
	v_add_f16_e32 v81, v93, v81
	v_mul_f16_e32 v93, 0xb1e1, v62
	v_fma_f16 v92, v61, s19, v92
	v_add_f16_e32 v91, v91, v94
	v_fma_f16 v94, v60, s19, v93
	v_add_f16_e32 v80, v92, v80
	v_fma_f16 v92, v60, s19, -v93
	v_mul_f16_e32 v93, 0x3836, v63
	v_add_f16_e32 v92, v92, v95
	v_fma_f16 v95, v61, s18, -v93
	v_add_f16_e32 v83, v95, v83
	v_mul_f16_e32 v95, 0x3836, v62
	v_fma_f16 v93, v61, s18, v93
	v_add_f16_e32 v94, v94, v96
	v_fma_f16 v96, v60, s18, v95
	v_add_f16_e32 v82, v93, v82
	;; [unrolled: 10-line block ×3, first 2 shown]
	v_fma_f16 v95, v60, s15, -v97
	v_mul_f16_e32 v97, 0x3b29, v63
	v_add_f16_e32 v95, v95, v99
	v_fma_f16 v99, v61, s14, -v97
	v_add_f16_e32 v87, v99, v87
	v_mul_f16_e32 v99, 0x3b29, v62
	v_fma_f16 v97, v61, s14, v97
	v_mul_f16_e32 v63, 0x35c8, v63
	v_add_f16_e32 v98, v98, v100
	v_fma_f16 v100, v60, s14, v99
	v_add_f16_e32 v86, v97, v86
	v_fma_f16 v97, v60, s14, -v99
	v_fma_f16 v99, v61, s6, -v63
	v_mul_f16_e32 v62, 0x35c8, v62
	v_add_f16_e32 v88, v99, v88
	v_fma_f16 v99, v60, s6, v62
	v_fma_f16 v60, v60, s6, -v62
	v_add_f16_e32 v26, v60, v26
	v_mul_f16_e32 v60, 0xbb29, v66
	v_fma_f16 v62, v39, s14, -v60
	v_add_f16_e32 v57, v62, v57
	v_mul_f16_e32 v62, 0xbb29, v64
	v_fma_f16 v60, v39, s14, v60
	v_add_f16_e32 v27, v60, v27
	v_fma_f16 v60, v36, s14, -v62
	v_fma_f16 v72, v61, s17, v72
	v_fma_f16 v61, v61, s6, v63
	;; [unrolled: 1-line block ×3, first 2 shown]
	v_add_f16_e32 v58, v60, v58
	v_mul_f16_e32 v60, 0xba62, v66
	v_add_f16_e32 v59, v63, v59
	v_fma_f16 v62, v39, s17, -v60
	v_mul_f16_e32 v63, 0xba62, v64
	v_fma_f16 v60, v39, s17, v60
	v_add_f16_e32 v62, v62, v68
	v_fma_f16 v68, v36, s17, v63
	v_add_f16_e32 v60, v60, v65
	v_fma_f16 v63, v36, s17, -v63
	v_mul_f16_e32 v65, 0x31e1, v66
	v_add_f16_e32 v72, v72, v104
	v_add_f16_e32 v61, v61, v78
	;; [unrolled: 1-line block ×3, first 2 shown]
	v_fma_f16 v71, v39, s19, -v65
	v_mul_f16_e32 v78, 0x31e1, v64
	v_fma_f16 v65, v39, s19, v65
	v_add_f16_e32 v68, v68, v79
	v_fma_f16 v79, v36, s19, v78
	v_add_f16_e32 v65, v65, v72
	v_fma_f16 v72, v36, s19, -v78
	v_mul_f16_e32 v78, 0x3bb2, v66
	v_add_f16_e32 v71, v71, v89
	v_fma_f16 v89, v39, s15, -v78
	v_add_f16_e32 v81, v89, v81
	v_mul_f16_e32 v89, 0x3bb2, v64
	v_fma_f16 v78, v39, s15, v78
	v_add_f16_e32 v72, v72, v90
	v_fma_f16 v90, v36, s15, v89
	v_add_f16_e32 v78, v78, v80
	v_fma_f16 v80, v36, s15, -v89
	v_mul_f16_e32 v89, 0x3964, v66
	v_add_f16_e32 v79, v79, v91
	v_fma_f16 v91, v39, s7, -v89
	v_add_f16_e32 v83, v91, v83
	v_mul_f16_e32 v91, 0x3964, v64
	v_fma_f16 v89, v39, s7, v89
	v_add_f16_e32 v80, v80, v92
	v_fma_f16 v92, v36, s7, v91
	v_add_f16_e32 v82, v89, v82
	v_fma_f16 v89, v36, s7, -v91
	v_mul_f16_e32 v91, 0xb5c8, v66
	v_add_f16_e32 v89, v89, v93
	v_fma_f16 v93, v39, s6, -v91
	v_add_f16_e32 v85, v93, v85
	v_mul_f16_e32 v93, 0xb5c8, v64
	v_fma_f16 v91, v39, s6, v91
	v_add_f16_e32 v90, v90, v94
	v_fma_f16 v94, v36, s6, v93
	v_add_f16_e32 v84, v91, v84
	v_fma_f16 v91, v36, s6, -v93
	v_mul_f16_e32 v93, 0xbbf7, v66
	v_add_f16_e32 v91, v91, v95
	v_fma_f16 v95, v39, s16, -v93
	v_add_f16_e32 v87, v95, v87
	v_mul_f16_e32 v95, 0xbbf7, v64
	v_fma_f16 v93, v39, s16, v93
	v_mul_f16_e32 v66, 0xb836, v66
	v_add_f16_e32 v92, v92, v96
	v_fma_f16 v96, v36, s16, v95
	v_add_f16_e32 v86, v93, v86
	v_fma_f16 v93, v36, s16, -v95
	v_fma_f16 v95, v39, s18, -v66
	v_mul_f16_e32 v64, 0xb836, v64
	v_add_f16_e32 v88, v95, v88
	v_fma_f16 v95, v36, s18, v64
	v_fma_f16 v36, v36, s18, -v64
	v_fma_f16 v39, v39, s18, v66
	v_add_f16_e32 v26, v36, v26
	v_mul_f16_e32 v36, 0xbbf7, v69
	v_add_f16_e32 v39, v39, v61
	v_fma_f16 v61, v38, s16, -v36
	v_add_f16_e32 v57, v61, v57
	v_mul_f16_e32 v61, 0xbbf7, v67
	v_fma_f16 v36, v38, s16, v36
	v_add_f16_e32 v27, v36, v27
	v_fma_f16 v36, v37, s16, -v61
	v_add_f16_e32 v36, v36, v58
	v_mul_f16_e32 v58, 0xb1e1, v69
	v_fma_f16 v64, v37, s16, v61
	v_fma_f16 v61, v38, s19, -v58
	v_add_f16_e32 v61, v61, v62
	v_mul_f16_e32 v62, 0xb1e1, v67
	v_fma_f16 v58, v38, s19, v58
	v_add_f16_e32 v59, v64, v59
	v_fma_f16 v64, v37, s19, v62
	v_add_f16_e32 v58, v58, v60
	v_fma_f16 v60, v37, s19, -v62
	v_mul_f16_e32 v62, 0x3bb2, v69
	v_add_f16_e32 v60, v60, v63
	v_fma_f16 v63, v38, s15, -v62
	v_mul_f16_e32 v66, 0x3bb2, v67
	v_fma_f16 v62, v38, s15, v62
	v_add_f16_e32 v64, v64, v68
	v_fma_f16 v68, v37, s15, v66
	v_add_f16_e32 v62, v62, v65
	v_fma_f16 v65, v37, s15, -v66
	v_mul_f16_e32 v66, 0x35c8, v69
	v_add_f16_e32 v63, v63, v71
	v_add_f16_e32 v65, v65, v72
	v_fma_f16 v71, v38, s6, -v66
	v_mul_f16_e32 v72, 0x35c8, v67
	v_fma_f16 v66, v38, s6, v66
	v_add_f16_e32 v68, v68, v79
	v_fma_f16 v79, v37, s6, v72
	v_add_f16_e32 v66, v66, v78
	v_fma_f16 v72, v37, s6, -v72
	v_mul_f16_e32 v78, 0xbb29, v69
	v_add_f16_e32 v71, v71, v81
	;; [unrolled: 10-line block ×3, first 2 shown]
	v_fma_f16 v89, v38, s18, -v82
	v_add_f16_e32 v85, v89, v85
	v_mul_f16_e32 v89, 0xb836, v67
	v_fma_f16 v82, v38, s18, v82
	v_add_f16_e32 v79, v79, v90
	v_fma_f16 v90, v37, s18, v89
	v_add_f16_e32 v82, v82, v84
	v_fma_f16 v84, v37, s18, -v89
	v_mul_f16_e32 v89, 0x3a62, v69
	v_add_f16_e32 v84, v84, v91
	v_fma_f16 v91, v38, s17, -v89
	v_add_f16_e32 v87, v91, v87
	v_mul_f16_e32 v91, 0x3a62, v67
	v_fma_f16 v89, v38, s17, v89
	v_mul_f16_e32 v69, 0x3964, v69
	v_add_f16_e32 v83, v83, v92
	v_fma_f16 v92, v37, s17, v91
	v_add_f16_e32 v86, v89, v86
	v_fma_f16 v89, v37, s17, -v91
	v_fma_f16 v91, v38, s7, -v69
	v_mul_f16_e32 v67, 0x3964, v67
	v_add_f16_e32 v88, v91, v88
	v_fma_f16 v91, v37, s7, v67
	v_fma_f16 v37, v37, s7, -v67
	v_fma_f16 v38, v38, s7, v69
	v_add_f16_e32 v26, v37, v26
	v_mul_f16_e32 v37, 0xbbb2, v73
	v_add_f16_e32 v38, v38, v39
	v_fma_f16 v39, v35, s15, -v37
	v_add_f16_e32 v39, v39, v57
	v_mul_f16_e32 v57, 0xbbb2, v70
	v_fma_f16 v37, v35, s15, v37
	v_add_f16_e32 v27, v37, v27
	v_fma_f16 v37, v32, s15, -v57
	v_add_f16_e32 v36, v37, v36
	v_mul_f16_e32 v37, 0x3836, v73
	v_fma_f16 v67, v32, s15, v57
	v_fma_f16 v57, v35, s18, -v37
	v_add_f16_e32 v57, v57, v61
	v_mul_f16_e32 v61, 0x3836, v70
	v_fma_f16 v37, v35, s18, v37
	v_add_f16_e32 v37, v37, v58
	v_fma_f16 v58, v32, s18, -v61
	v_add_f16_e32 v58, v58, v60
	v_mul_f16_e32 v60, 0x3964, v73
	v_add_f16_e32 v59, v67, v59
	v_fma_f16 v67, v32, s18, v61
	v_fma_f16 v61, v35, s7, -v60
	v_add_f16_e32 v61, v61, v63
	v_mul_f16_e32 v63, 0x3964, v70
	v_fma_f16 v60, v35, s7, v60
	v_add_f16_e32 v64, v67, v64
	v_fma_f16 v67, v32, s7, v63
	v_add_f16_e32 v60, v60, v62
	v_fma_f16 v62, v32, s7, -v63
	v_mul_f16_e32 v63, 0xbb29, v73
	v_add_f16_e32 v67, v67, v68
	v_add_f16_e32 v62, v62, v65
	v_fma_f16 v65, v35, s14, -v63
	v_mul_f16_e32 v68, 0xbb29, v70
	v_fma_f16 v63, v35, s14, v63
	v_fma_f16 v69, v32, s14, v68
	v_add_f16_e32 v63, v63, v66
	v_fma_f16 v66, v32, s14, -v68
	v_mul_f16_e32 v68, 0xb1e1, v73
	v_add_f16_e32 v65, v65, v71
	v_add_f16_e32 v66, v66, v72
	v_fma_f16 v71, v35, s19, -v68
	v_mul_f16_e32 v72, 0xb1e1, v70
	v_fma_f16 v68, v35, s19, v68
	v_add_f16_e32 v69, v69, v79
	v_fma_f16 v79, v32, s19, v72
	v_add_f16_e32 v68, v68, v78
	v_fma_f16 v72, v32, s19, -v72
	v_mul_f16_e32 v78, 0x3bf7, v73
	v_add_f16_e32 v71, v71, v80
	v_add_f16_e32 v72, v72, v81
	v_fma_f16 v80, v35, s16, -v78
	v_mul_f16_e32 v81, 0x3bf7, v70
	v_fma_f16 v78, v35, s16, v78
	v_add_f16_e32 v79, v79, v83
	v_fma_f16 v83, v32, s16, v81
	v_add_f16_e32 v78, v78, v82
	v_fma_f16 v81, v32, s16, -v81
	v_mul_f16_e32 v82, 0xb5c8, v73
	v_add_f16_e32 v81, v81, v84
	v_fma_f16 v84, v35, s6, -v82
	v_fma_f16 v82, v35, s6, v82
	v_mul_f16_e32 v73, 0xba62, v73
	v_add_f16_e32 v80, v80, v85
	v_mul_f16_e32 v85, 0xb5c8, v70
	v_add_f16_e32 v82, v82, v86
	v_fma_f16 v86, v35, s17, -v73
	v_mul_f16_e32 v70, 0xba62, v70
	v_add_f16_e32 v84, v84, v87
	v_fma_f16 v87, v32, s6, v85
	v_fma_f16 v85, v32, s6, -v85
	v_add_f16_e32 v86, v86, v88
	v_fma_f16 v88, v32, s17, v70
	v_fma_f16 v32, v32, s17, -v70
	v_fma_f16 v35, v35, s17, v73
	v_add_f16_e32 v26, v32, v26
	v_mul_f16_e32 v32, 0xba62, v76
	v_add_f16_e32 v35, v35, v38
	v_fma_f16 v38, v34, s17, -v32
	v_add_f16_e32 v38, v38, v39
	v_mul_f16_e32 v39, 0xba62, v75
	v_fma_f16 v32, v34, s17, v32
	v_add_f16_e32 v27, v32, v27
	v_fma_f16 v32, v33, s17, -v39
	v_add_f16_e32 v32, v32, v36
	v_mul_f16_e32 v36, 0x3bb2, v76
	v_fma_f16 v70, v33, s17, v39
	v_fma_f16 v39, v34, s15, -v36
	v_add_f16_e32 v39, v39, v57
	v_mul_f16_e32 v57, 0x3bb2, v75
	v_fma_f16 v36, v34, s15, v36
	v_add_f16_e32 v59, v70, v59
	v_fma_f16 v70, v33, s15, v57
	v_add_f16_e32 v36, v36, v37
	v_fma_f16 v37, v33, s15, -v57
	v_mul_f16_e32 v57, 0xb5c8, v76
	v_add_f16_e32 v37, v37, v58
	v_fma_f16 v58, v34, s6, -v57
	v_add_f16_e32 v58, v58, v61
	v_mul_f16_e32 v61, 0xb5c8, v75
	v_fma_f16 v57, v34, s6, v57
	v_add_f16_e32 v64, v70, v64
	v_fma_f16 v70, v33, s6, v61
	v_add_f16_e32 v57, v57, v60
	v_fma_f16 v60, v33, s6, -v61
	v_mul_f16_e32 v61, 0xb836, v76
	v_add_f16_e32 v60, v60, v62
	;; [unrolled: 10-line block ×3, first 2 shown]
	v_add_f16_e32 v63, v63, v66
	v_fma_f16 v66, v34, s16, -v65
	v_mul_f16_e32 v70, 0x3bf7, v75
	v_fma_f16 v65, v34, s16, v65
	v_add_f16_e32 v66, v66, v71
	v_fma_f16 v71, v33, s16, v70
	v_add_f16_e32 v65, v65, v68
	v_fma_f16 v68, v33, s16, -v70
	v_mul_f16_e32 v70, 0xb964, v76
	v_add_f16_e32 v94, v94, v98
	v_add_f16_e32 v68, v68, v72
	v_fma_f16 v72, v34, s7, -v70
	v_mul_f16_e32 v73, 0xb964, v75
	v_fma_f16 v70, v34, s7, v70
	v_add_f16_e32 v90, v90, v94
	v_add_f16_e32 v71, v71, v79
	v_fma_f16 v79, v33, s7, v73
	v_add_f16_e32 v70, v70, v78
	v_fma_f16 v73, v33, s7, -v73
	v_mul_f16_e32 v78, 0xb1e1, v76
	v_add_f16_e32 v83, v83, v90
	v_add_f16_e32 v72, v72, v80
	;; [unrolled: 1-line block ×3, first 2 shown]
	v_fma_f16 v80, v34, s19, -v78
	v_mul_f16_e32 v81, 0xb1e1, v75
	v_mul_f16_e32 v75, 0x3b29, v75
	v_add_f16_e32 v79, v79, v83
	v_add_f16_e32 v80, v80, v84
	v_fma_f16 v83, v33, s19, v81
	v_fma_f16 v78, v34, s19, v78
	v_fma_f16 v81, v33, s19, -v81
	v_mul_f16_e32 v76, 0x3b29, v76
	v_fma_f16 v84, v33, s14, v75
	v_fma_f16 v33, v33, s14, -v75
	v_add_f16_e32 v78, v78, v82
	v_fma_f16 v82, v34, s14, -v76
	v_fma_f16 v34, v34, s14, v76
	v_add_f16_e32 v26, v33, v26
	v_mul_f16_e32 v33, 0xb836, v30
	v_add_f16_e32 v34, v34, v35
	v_fma_f16 v35, v74, s18, -v33
	v_add_f16_e32 v35, v35, v38
	v_mul_f16_e32 v38, 0xb836, v77
	v_fma_f16 v33, v74, s18, v33
	v_add_f16_e32 v27, v33, v27
	v_fma_f16 v33, v31, s18, -v38
	v_add_f16_e32 v32, v33, v32
	v_mul_f16_e32 v33, 0x3b29, v30
	v_fma_f16 v75, v31, s18, v38
	v_fma_f16 v38, v74, s14, -v33
	v_add_f16_e32 v38, v38, v39
	v_mul_f16_e32 v39, 0x3b29, v77
	v_fma_f16 v33, v74, s14, v33
	v_add_f16_e32 v33, v33, v36
	v_fma_f16 v36, v31, s14, -v39
	v_add_f16_e32 v36, v36, v37
	v_mul_f16_e32 v37, 0xbbf7, v30
	v_add_f16_e32 v59, v75, v59
	v_fma_f16 v75, v31, s14, v39
	v_fma_f16 v39, v74, s16, -v37
	v_add_f16_e32 v39, v39, v58
	v_mul_f16_e32 v58, 0xbbf7, v77
	v_fma_f16 v37, v74, s16, v37
	v_add_f16_e32 v64, v75, v64
	v_fma_f16 v75, v31, s16, v58
	v_add_f16_e32 v37, v37, v57
	v_fma_f16 v57, v31, s16, -v58
	v_mul_f16_e32 v58, 0x3a62, v30
	v_add_f16_e32 v57, v57, v60
	v_fma_f16 v60, v74, s17, -v58
	v_add_f16_e32 v60, v60, v62
	v_mul_f16_e32 v62, 0x3a62, v77
	v_fma_f16 v58, v74, s17, v58
	v_add_f16_e32 v67, v75, v67
	v_fma_f16 v75, v31, s17, v62
	v_add_f16_e32 v58, v58, v61
	v_fma_f16 v61, v31, s17, -v62
	v_mul_f16_e32 v62, 0xb5c8, v30
	v_add_f16_e32 v61, v61, v63
	;; [unrolled: 10-line block ×4, first 2 shown]
	v_fma_f16 v73, v74, s7, -v72
	v_mul_f16_e32 v76, 0x3964, v77
	v_fma_f16 v72, v74, s7, v72
	v_mul_f16_e32 v30, 0xbbb2, v30
	v_mul_f16_e32 v77, 0xbbb2, v77
	v_add_f16_e32 v75, v75, v79
	v_add_f16_e32 v73, v73, v80
	v_fma_f16 v79, v31, s7, v76
	v_add_f16_e32 v72, v72, v78
	v_fma_f16 v76, v31, s7, -v76
	v_fma_f16 v78, v74, s15, -v30
	v_fma_f16 v80, v31, s15, v77
	v_fma_f16 v30, v74, s15, v30
	v_fma_f16 v31, v31, s15, -v77
	v_add_f16_e32 v30, v30, v34
	v_add_f16_e32 v26, v31, v26
	v_add_f16_e32 v31, v25, v24
	v_add_f16_sdwa v34, v25, v24 dst_sel:DWORD dst_unused:UNUSED_PAD src0_sel:WORD_1 src1_sel:WORD_1
	v_sub_f16_e32 v74, v24, v25
	v_sub_f16_sdwa v24, v24, v25 dst_sel:DWORD dst_unused:UNUSED_PAD src0_sel:WORD_1 src1_sel:WORD_1
	v_add_f16_e32 v97, v97, v101
	v_mul_f16_e32 v25, 0xb1e1, v24
	v_add_f16_e32 v93, v93, v97
	v_fma_f16 v77, v31, s19, -v25
	v_add_f16_e32 v89, v89, v93
	v_add_f16_e32 v35, v77, v35
	v_mul_f16_e32 v77, 0xb1e1, v74
	v_fma_f16 v25, v31, s19, v25
	v_add_f16_e32 v99, v99, v103
	v_add_f16_e32 v85, v85, v89
	;; [unrolled: 1-line block ×3, first 2 shown]
	v_fma_f16 v27, v34, s19, -v77
	v_add_f16_e32 v95, v95, v99
	v_add_f16_e32 v81, v81, v85
	;; [unrolled: 1-line block ×3, first 2 shown]
	v_mul_f16_e32 v27, 0x35c8, v24
	v_add_f16_e32 v91, v91, v95
	v_fma_f16 v32, v31, s6, -v27
	v_add_f16_e32 v88, v88, v91
	v_add_f16_e32 v32, v32, v38
	v_mul_f16_e32 v38, 0x35c8, v74
	v_fma_f16 v27, v31, s6, v27
	v_add_f16_e32 v84, v84, v88
	v_add_f16_e32 v76, v76, v81
	v_fma_f16 v81, v34, s19, v77
	v_add_f16_e32 v77, v27, v33
	v_fma_f16 v27, v34, s6, -v38
	v_add_f16_e32 v80, v80, v84
	v_add_f16_e32 v84, v27, v36
	v_mul_f16_e32 v27, 0xb836, v24
	v_fma_f16 v33, v31, s18, -v27
	v_mul_f16_e32 v36, 0xb836, v74
	v_fma_f16 v27, v31, s18, v27
	v_add_f16_e32 v37, v27, v37
	v_fma_f16 v27, v34, s18, -v36
	v_add_f16_e32 v33, v33, v39
	v_add_f16_e32 v39, v27, v57
	v_mul_f16_e32 v27, 0x3964, v24
	v_add_f16_e32 v81, v81, v59
	v_fma_f16 v59, v34, s6, v38
	v_fma_f16 v38, v34, s18, v36
	v_fma_f16 v36, v31, s7, -v27
	v_mul_f16_e32 v57, 0x3964, v74
	v_fma_f16 v27, v31, s7, v27
	v_add_f16_e32 v58, v27, v58
	v_fma_f16 v27, v34, s7, -v57
	v_add_f16_e32 v100, v100, v102
	v_add_f16_e32 v64, v59, v64
	v_fma_f16 v59, v34, s7, v57
	v_add_f16_e32 v57, v27, v61
	v_mul_f16_e32 v27, 0xba62, v24
	v_add_f16_e32 v96, v96, v100
	v_add_f16_e32 v38, v38, v67
	;; [unrolled: 1-line block ×3, first 2 shown]
	v_fma_f16 v59, v31, s17, -v27
	v_add_f16_e32 v92, v92, v96
	v_add_f16_e32 v69, v59, v63
	v_mul_f16_e32 v59, 0xba62, v74
	v_fma_f16 v27, v31, s17, v27
	v_add_f16_e32 v87, v87, v92
	v_add_f16_e32 v62, v27, v62
	v_fma_f16 v27, v34, s17, -v59
	v_add_f16_e32 v83, v83, v87
	v_add_f16_e32 v87, v27, v65
	v_mul_f16_e32 v27, 0x3b29, v24
	v_add_f16_e32 v36, v36, v60
	v_fma_f16 v60, v34, s17, v59
	v_fma_f16 v59, v31, s14, -v27
	v_add_f16_e32 v68, v59, v68
	v_mul_f16_e32 v59, 0x3b29, v74
	v_fma_f16 v27, v31, s14, v27
	v_add_f16_e32 v82, v82, v86
	v_add_f16_e32 v86, v27, v66
	v_fma_f16 v27, v34, s14, -v59
	v_add_f16_e32 v89, v27, v70
	v_mul_f16_e32 v27, 0xbbb2, v24
	v_add_f16_e32 v71, v60, v71
	v_fma_f16 v60, v34, s14, v59
	v_fma_f16 v59, v31, s15, -v27
	v_add_f16_e32 v73, v59, v73
	v_mul_f16_e32 v59, 0xbbb2, v74
	v_fma_f16 v27, v31, s15, v27
	v_add_f16_e32 v91, v27, v72
	v_fma_f16 v27, v34, s15, -v59
	v_mul_f16_e32 v24, 0x3bf7, v24
	v_add_f16_e32 v78, v78, v82
	v_add_f16_e32 v92, v27, v76
	v_fma_f16 v27, v31, s16, -v24
	v_add_f16_e32 v76, v27, v78
	v_mul_f16_e32 v27, 0x3bf7, v74
	v_add_f16_e32 v79, v79, v83
	v_add_f16_e32 v83, v60, v75
	v_fma_f16 v60, v34, s15, v59
	v_fma_f16 v59, v34, s16, v27
	v_fma_f16 v27, v34, s16, -v27
	v_sub_f16_e32 v61, v44, v55
	v_add_f16_e32 v74, v59, v80
	v_fma_f16 v24, v31, s16, v24
	v_add_f16_e32 v80, v27, v26
	v_add_f16_e32 v26, v56, v1
	v_mul_f16_e32 v59, 0xb5c8, v61
	v_add_f16_e32 v24, v24, v30
	v_fma_f16 v30, v26, s6, v59
	v_pack_b32_f16 v28, v28, v29
	v_mul_lo_u16_e32 v29, 17, v18
	v_sub_f16_e32 v63, v1, v56
	v_add_f16_e32 v31, v30, v0
	v_pack_b32_f16 v30, v35, v81
	v_lshlrev_b32_e32 v123, 2, v29
	v_sub_f16_e32 v75, v43, v54
	v_add_f16_e32 v79, v60, v79
	v_add_f16_e32 v27, v55, v44
	v_mul_f16_e32 v60, 0xb5c8, v63
	s_waitcnt lgkmcnt(0)
	; wave barrier
	ds_write2_b32 v123, v28, v30 offset1:1
	v_add_f16_e32 v28, v7, v14
	v_pack_b32_f16 v29, v33, v38
	v_sub_f16_e32 v82, v14, v7
	v_pack_b32_f16 v32, v32, v64
	v_mul_f16_e32 v65, 0xb964, v75
	v_fma_f16 v34, v27, s6, -v60
	v_add_f16_e32 v30, v54, v43
	ds_write2_b32 v123, v32, v29 offset0:2 offset1:3
	v_fma_f16 v29, v28, s7, v65
	v_mul_f16_e32 v70, 0xb964, v82
	v_add_f16_sdwa v34, v34, v0 dst_sel:DWORD dst_unused:UNUSED_PAD src0_sel:DWORD src1_sel:WORD_1
	v_add_f16_e32 v31, v29, v31
	v_fma_f16 v29, v30, s7, -v70
	v_sub_f16_e32 v78, v42, v53
	v_add_f16_e32 v33, v29, v34
	v_pack_b32_f16 v32, v69, v71
	v_add_f16_e32 v29, v6, v15
	v_pack_b32_f16 v34, v36, v67
	v_mul_f16_e32 v66, 0xbb29, v78
	ds_write2_b32 v123, v34, v32 offset0:4 offset1:5
	v_fma_f16 v32, v29, s14, v66
	v_sub_f16_e32 v88, v15, v6
	v_add_f16_e32 v35, v32, v31
	v_add_f16_e32 v32, v53, v42
	v_mul_f16_e32 v72, 0xbb29, v88
	v_fma_f16 v31, v32, s14, -v72
	v_add_f16_e32 v33, v31, v33
	v_pack_b32_f16 v31, v73, v79
	v_pack_b32_f16 v34, v68, v83
	v_sub_f16_e32 v83, v41, v52
	ds_write2_b32 v123, v34, v31 offset0:6 offset1:7
	v_add_f16_e32 v31, v5, v12
	v_pack_b32_f16 v24, v24, v80
	v_sub_f16_e32 v90, v12, v5
	v_pack_b32_f16 v36, v76, v74
	v_mul_f16_e32 v68, 0xbbf7, v83
	v_add_f16_e32 v34, v52, v41
	ds_write2_b32 v123, v36, v24 offset0:8 offset1:9
	v_fma_f16 v24, v31, s16, v68
	v_mul_f16_e32 v76, 0xbbf7, v90
	v_add_f16_e32 v24, v24, v35
	v_fma_f16 v35, v34, s16, -v76
	v_pack_b32_f16 v36, v86, v89
	v_sub_f16_e32 v86, v40, v51
	v_add_f16_e32 v35, v35, v33
	v_add_f16_e32 v33, v4, v13
	v_pack_b32_f16 v38, v91, v92
	v_mul_f16_e32 v71, 0xbbb2, v86
	ds_write2_b32 v123, v38, v36 offset0:10 offset1:11
	v_fma_f16 v36, v33, s15, v71
	v_sub_f16_e32 v95, v13, v4
	v_add_f16_e32 v24, v36, v24
	v_add_f16_e32 v36, v51, v40
	v_mul_f16_e32 v80, 0xbbb2, v95
	v_fma_f16 v38, v36, s15, -v80
	v_add_f16_e32 v64, v38, v35
	v_pack_b32_f16 v35, v58, v57
	v_pack_b32_f16 v38, v62, v87
	v_sub_f16_e32 v91, v50, v47
	ds_write2_b32 v123, v38, v35 offset0:12 offset1:13
	v_add_f16_e32 v35, v3, v10
	v_pack_b32_f16 v57, v77, v84
	v_sub_f16_e32 v96, v10, v3
	v_pack_b32_f16 v37, v37, v39
	v_mul_f16_e32 v74, 0xba62, v91
	v_add_f16_e32 v38, v47, v50
	ds_write2_b32 v123, v37, v57 offset0:14 offset1:15
	v_fma_f16 v37, v35, s17, v74
	v_mul_f16_e32 v84, 0xba62, v96
	v_add_f16_e32 v24, v37, v24
	v_fma_f16 v37, v38, s17, -v84
	v_sub_f16_e32 v92, v49, v45
	v_add_f16_e32 v39, v37, v64
	v_add_f16_e32 v37, v2, v11
	v_mul_f16_e32 v77, 0xb836, v92
	v_fma_f16 v57, v37, s18, v77
	v_sub_f16_e32 v98, v11, v2
	v_add_f16_e32 v24, v57, v24
	v_add_f16_e32 v57, v45, v49
	v_mul_f16_e32 v87, 0xb836, v98
	v_fma_f16 v58, v57, s18, -v87
	v_sub_f16_e32 v94, v48, v46
	v_add_f16_e32 v62, v58, v39
	v_add_f16_e32 v39, v9, v8
	v_mul_f16_e32 v79, 0xb1e1, v94
	v_fma_f16 v58, v39, s19, v79
	v_sub_f16_e32 v99, v8, v9
	v_add_f16_e32 v122, v58, v24
	v_add_f16_e32 v58, v46, v48
	v_mul_f16_e32 v89, 0xb1e1, v99
	v_fma_f16 v24, v58, s19, -v89
	v_add_f16_e32 v121, v24, v62
	v_pack_b32_f16 v24, v25, v85
	ds_write_b32 v123, v24 offset:64
	s_mov_b32 s21, 0xb5c8
	s_mov_b32 s34, 0xb964
	;; [unrolled: 1-line block ×8, first 2 shown]
	s_movk_i32 s35, 0x3836
	s_movk_i32 s33, 0x3bb2
	s_movk_i32 s26, 0x3b29
	s_movk_i32 s30, 0x35c8
	s_movk_i32 s36, 0x31e1
	s_movk_i32 s24, 0x3964
	s_movk_i32 s27, 0x3a62
	s_movk_i32 s29, 0x3bf7
	v_lshl_add_u64 v[24:25], v[18:19], 0, 51
	s_and_saveexec_b64 s[4:5], vcc
	s_cbranch_execz .LBB0_7
; %bb.6:
	v_mul_f16_e32 v81, 0xbacd, v27
	v_fma_f16 v25, v63, s35, v81
	v_mul_f16_e32 v85, 0x3722, v30
	v_add_f16_sdwa v25, v25, v0 dst_sel:DWORD dst_unused:UNUSED_PAD src0_sel:DWORD src1_sel:WORD_1
	v_fma_f16 v62, v82, s31, v85
	v_mul_f16_e32 v93, 0x2de8, v32
	v_add_f16_e32 v25, v62, v25
	v_fma_f16 v62, v88, s29, v93
	v_mul_f16_e32 v97, 0xb8d2, v34
	v_add_f16_e32 v25, v62, v25
	;; [unrolled: 3-line block ×11, first 2 shown]
	v_fma_f16 v64, v33, s6, v126
	v_mul_f16_e32 v127, 0xb1e1, v91
	v_fma_f16 v81, v63, s25, v81
	v_add_f16_e32 v62, v64, v62
	v_fma_f16 v64, v35, s19, v127
	v_mul_f16_e32 v128, 0x3964, v92
	v_add_f16_sdwa v81, v81, v0 dst_sel:DWORD dst_unused:UNUSED_PAD src0_sel:DWORD src1_sel:WORD_1
	v_fma_f16 v85, v82, s26, v85
	v_add_f16_e32 v62, v64, v62
	v_fma_f16 v64, v37, s7, v128
	v_mul_f16_e32 v129, 0xbbb2, v94
	v_add_f16_e32 v81, v85, v81
	v_fma_f16 v85, v88, s23, v93
	v_add_f16_e32 v62, v64, v62
	v_fma_f16 v64, v39, s15, v129
	v_mul_f16_e32 v69, 0xbbdd, v27
	v_add_f16_e32 v81, v85, v81
	v_fma_f16 v85, v90, s27, v97
	v_add_f16_e32 v62, v64, v62
	v_fma_f16 v64, v63, s36, v69
	v_mul_f16_e32 v73, 0x3b76, v30
	v_add_f16_e32 v81, v85, v81
	v_fma_f16 v85, v95, s21, v100
	v_add_f16_sdwa v64, v64, v0 dst_sel:DWORD dst_unused:UNUSED_PAD src0_sel:DWORD src1_sel:WORD_1
	v_fma_f16 v67, v82, s21, v73
	v_mul_f16_e32 v130, 0xbacd, v32
	v_add_f16_e32 v81, v85, v81
	v_fma_f16 v85, v96, s22, v101
	v_add_f16_e32 v64, v67, v64
	v_fma_f16 v67, v88, s35, v130
	v_mul_f16_e32 v131, 0x39e9, v34
	v_add_f16_e32 v81, v85, v81
	v_fma_f16 v85, v98, s24, v102
	v_add_f16_e32 v64, v67, v64
	;; [unrolled: 5-line block ×3, first 2 shown]
	v_fma_f16 v67, v95, s27, v132
	v_mul_f16_e32 v133, 0x3722, v38
	v_add_f16_e32 v81, v85, v81
	v_fma_f16 v85, v26, s18, -v104
	v_add_f16_e32 v64, v67, v64
	v_fma_f16 v67, v96, s31, v133
	v_mul_f16_e32 v134, 0xb461, v57
	v_add_f16_e32 v85, v85, v0
	v_fma_f16 v93, v28, s14, -v105
	v_add_f16_e32 v64, v67, v64
	v_fma_f16 v67, v98, s33, v134
	v_mul_f16_e32 v135, 0x2de8, v58
	v_fma_f16 v69, v63, s22, v69
	v_add_f16_e32 v85, v93, v85
	v_fma_f16 v93, v29, s16, -v124
	v_add_f16_e32 v64, v67, v64
	v_fma_f16 v67, v99, s23, v135
	v_mul_f16_e32 v136, 0xb1e1, v61
	v_add_f16_sdwa v69, v69, v0 dst_sel:DWORD dst_unused:UNUSED_PAD src0_sel:DWORD src1_sel:WORD_1
	v_fma_f16 v73, v82, s30, v73
	v_add_f16_e32 v85, v93, v85
	v_fma_f16 v93, v31, s17, -v125
	v_add_f16_e32 v64, v67, v64
	v_fma_f16 v67, v26, s19, v136
	v_mul_f16_e32 v137, 0x35c8, v75
	v_add_f16_e32 v69, v73, v69
	v_fma_f16 v73, v88, s25, v130
	v_add_f16_e32 v85, v93, v85
	v_fma_f16 v93, v33, s6, -v126
	v_add_f16_e32 v67, v67, v0
	v_fma_f16 v138, v28, s6, v137
	v_add_f16_e32 v69, v73, v69
	v_fma_f16 v73, v90, s24, v131
	v_add_f16_e32 v85, v93, v85
	v_fma_f16 v93, v35, s19, -v127
	v_add_f16_e32 v67, v138, v67
	v_mul_f16_e32 v138, 0xb836, v78
	v_add_f16_e32 v69, v73, v69
	v_fma_f16 v73, v95, s28, v132
	v_add_f16_e32 v85, v93, v85
	v_fma_f16 v93, v37, s7, -v128
	v_fma_f16 v139, v29, s18, v138
	v_add_f16_e32 v69, v73, v69
	v_fma_f16 v73, v96, s26, v133
	v_add_f16_e32 v85, v93, v85
	v_fma_f16 v93, v39, s15, -v129
	v_mul_f16_e32 v101, 0xba62, v63
	v_add_f16_e32 v67, v139, v67
	v_mul_f16_e32 v139, 0x3964, v83
	v_add_f16_e32 v69, v73, v69
	v_fma_f16 v73, v98, s20, v134
	v_add_f16_e32 v85, v93, v85
	v_fma_f16 v93, v27, s17, v101
	v_mul_f16_e32 v102, 0x3bb2, v82
	v_fma_f16 v140, v31, s7, v139
	v_add_f16_e32 v69, v73, v69
	v_fma_f16 v73, v99, s29, v135
	v_add_f16_sdwa v93, v93, v0 dst_sel:DWORD dst_unused:UNUSED_PAD src0_sel:DWORD src1_sel:WORD_1
	v_fma_f16 v97, v30, s15, v102
	v_mul_f16_e32 v103, 0xb5c8, v88
	v_add_f16_e32 v67, v140, v67
	v_mul_f16_e32 v140, 0xba62, v86
	v_add_f16_e32 v69, v73, v69
	v_fma_f16 v73, v26, s19, -v136
	v_add_f16_e32 v93, v97, v93
	v_fma_f16 v97, v32, s6, v103
	v_mul_f16_e32 v104, 0xb836, v90
	v_fma_f16 v141, v33, s17, v140
	v_add_f16_e32 v73, v73, v0
	v_fma_f16 v130, v28, s6, -v137
	v_add_f16_e32 v93, v97, v93
	v_fma_f16 v97, v34, s18, v104
	v_mul_f16_e32 v105, 0x3bf7, v95
	v_add_f16_e32 v67, v141, v67
	v_mul_f16_e32 v141, 0x3b29, v91
	v_add_f16_e32 v73, v130, v73
	v_fma_f16 v130, v29, s18, -v138
	v_add_f16_e32 v93, v97, v93
	v_fma_f16 v97, v36, s16, v105
	v_mul_f16_e32 v124, 0xb964, v96
	v_fma_f16 v142, v35, s14, v141
	v_add_f16_e32 v73, v130, v73
	v_fma_f16 v130, v31, s7, -v139
	v_add_f16_e32 v93, v97, v93
	;; [unrolled: 13-line block ×3, first 2 shown]
	v_fma_f16 v97, v58, s14, v126
	v_mul_f16_e32 v127, 0xba62, v61
	v_add_f16_e32 v67, v143, v67
	v_mul_f16_e32 v143, 0x3bf7, v94
	v_add_f16_e32 v73, v130, v73
	v_fma_f16 v130, v37, s15, -v142
	v_add_f16_e32 v93, v97, v93
	v_fma_f16 v97, v26, s17, -v127
	v_mul_f16_e32 v128, 0x3bb2, v75
	v_add_f16_e32 v73, v130, v73
	v_fma_f16 v130, v39, s16, -v143
	v_add_f16_e32 v97, v97, v0
	v_fma_f16 v100, v28, s15, -v128
	v_mul_f16_e32 v129, 0xb5c8, v78
	v_add_f16_e32 v73, v130, v73
	v_add_f16_e32 v97, v100, v97
	v_fma_f16 v100, v29, s6, -v129
	v_mul_f16_e32 v130, 0xb836, v83
	v_add_f16_e32 v97, v100, v97
	v_fma_f16 v100, v31, s18, -v130
	v_mul_f16_e32 v131, 0x3bf7, v86
	;; [unrolled: 3-line block ×6, first 2 shown]
	v_add_f16_e32 v97, v100, v97
	v_fma_f16 v100, v27, s15, v135
	v_mul_f16_e32 v136, 0x3836, v82
	v_add_f16_sdwa v100, v100, v0 dst_sel:DWORD dst_unused:UNUSED_PAD src0_sel:DWORD src1_sel:WORD_1
	v_fma_f16 v137, v30, s18, v136
	v_add_f16_e32 v100, v137, v100
	v_mul_f16_e32 v137, 0x3964, v88
	v_fma_f16 v138, v32, s7, v137
	v_add_f16_e32 v100, v138, v100
	v_mul_f16_e32 v138, 0xbb29, v90
	;; [unrolled: 3-line block ×6, first 2 shown]
	v_fma_f16 v144, v39, s16, v143
	v_fma_f16 v143, v58, s17, v142
	v_add_f16_e32 v100, v143, v100
	v_mul_f16_e32 v143, 0xbbb2, v61
	v_add_f16_e32 v1, v1, v0
	v_add_f16_e32 v67, v144, v67
	v_fma_f16 v144, v26, s15, -v143
	v_mul_f16_e32 v145, 0x3836, v75
	v_add_f16_e32 v1, v14, v1
	v_add_f16_e32 v144, v144, v0
	v_fma_f16 v146, v28, s18, -v145
	v_add_f16_e32 v1, v15, v1
	v_mul_f16_e32 v14, 0x3964, v78
	v_add_f16_e32 v144, v146, v144
	v_fma_f16 v15, v29, s7, -v14
	v_add_f16_e32 v1, v12, v1
	v_add_f16_e32 v15, v15, v144
	v_mul_f16_e32 v144, 0xbb29, v83
	v_add_f16_e32 v1, v13, v1
	v_fma_f16 v146, v31, s14, -v144
	v_mul_f16_e32 v12, 0xb1e1, v86
	v_add_f16_e32 v1, v10, v1
	v_add_f16_e32 v15, v146, v15
	v_fma_f16 v13, v33, s19, -v12
	v_add_f16_e32 v1, v11, v1
	v_add_f16_e32 v13, v13, v15
	v_mul_f16_e32 v15, 0x3bf7, v91
	v_add_f16_e32 v1, v8, v1
	v_fma_f16 v146, v35, s16, -v15
	v_mul_f16_e32 v10, 0xb5c8, v92
	v_add_f16_e32 v1, v9, v1
	v_mul_f16_e32 v8, 0xbbf7, v63
	v_add_f16_e32 v13, v146, v13
	v_fma_f16 v11, v37, s6, -v10
	v_fma_f16 v9, v27, s16, v8
	v_add_f16_e32 v1, v2, v1
	v_mul_f16_e32 v2, 0xb1e1, v82
	v_add_f16_e32 v11, v11, v13
	v_mul_f16_e32 v13, 0xba62, v94
	v_add_f16_sdwa v9, v9, v0 dst_sel:DWORD dst_unused:UNUSED_PAD src0_sel:DWORD src1_sel:WORD_1
	v_add_f16_e32 v1, v3, v1
	v_fma_f16 v3, v30, s19, v2
	v_fma_f16 v146, v39, s17, -v13
	v_add_f16_e32 v3, v3, v9
	v_mul_f16_e32 v9, 0x3bb2, v88
	v_add_f16_e32 v11, v146, v11
	v_fma_f16 v146, v32, s15, v9
	v_add_f16_e32 v1, v4, v1
	v_mul_f16_e32 v4, 0x35c8, v90
	v_add_f16_e32 v3, v146, v3
	v_add_f16_e32 v1, v5, v1
	v_fma_f16 v5, v34, s6, v4
	v_add_f16_e32 v3, v5, v3
	v_mul_f16_e32 v5, 0xbb29, v95
	v_fma_f16 v146, v36, s14, v5
	v_add_f16_e32 v1, v6, v1
	v_mul_f16_e32 v6, 0xb836, v96
	v_add_f16_e32 v3, v146, v3
	v_add_f16_e32 v1, v7, v1
	v_fma_f16 v7, v38, s18, v6
	v_add_f16_e32 v3, v7, v3
	v_mul_f16_e32 v7, 0x3a62, v98
	v_fma_f16 v146, v57, s17, v7
	v_add_f16_e32 v3, v146, v3
	v_mul_f16_e32 v146, 0x3964, v99
	;; [unrolled: 3-line block ×3, first 2 shown]
	v_fma_f16 v148, v26, s16, -v147
	v_mul_f16_e32 v149, 0xb1e1, v75
	v_add_f16_e32 v148, v148, v0
	v_fma_f16 v150, v28, s19, -v149
	v_add_f16_e32 v148, v150, v148
	v_mul_f16_e32 v150, 0x3bb2, v78
	v_fma_f16 v151, v29, s15, -v150
	v_add_f16_e32 v148, v151, v148
	v_mul_f16_e32 v151, 0x35c8, v83
	;; [unrolled: 3-line block ×7, first 2 shown]
	v_fma_f16 v157, v27, s14, v156
	v_mul_f16_e32 v158, 0xba62, v82
	v_add_f16_sdwa v157, v157, v0 dst_sel:DWORD dst_unused:UNUSED_PAD src0_sel:DWORD src1_sel:WORD_1
	v_fma_f16 v159, v30, s17, v158
	v_add_f16_e32 v157, v159, v157
	v_mul_f16_e32 v159, 0x31e1, v88
	v_fma_f16 v160, v32, s19, v159
	v_add_f16_e32 v157, v160, v157
	v_mul_f16_e32 v160, 0x3bb2, v90
	;; [unrolled: 3-line block ×7, first 2 shown]
	v_fma_f16 v166, v26, s14, -v165
	v_mul_f16_e32 v167, 0xba62, v75
	v_add_f16_e32 v166, v166, v0
	v_fma_f16 v168, v28, s17, -v167
	v_add_f16_e32 v166, v168, v166
	v_mul_f16_e32 v168, 0x31e1, v78
	v_fma_f16 v169, v29, s19, -v168
	v_add_f16_e32 v166, v169, v166
	v_mul_f16_e32 v169, 0x3bb2, v83
	v_fma_f16 v170, v31, s15, -v169
	v_add_f16_e32 v166, v170, v166
	v_mul_f16_e32 v170, 0x3964, v86
	v_fma_f16 v171, v33, s7, -v170
	v_add_f16_e32 v166, v171, v166
	v_mul_f16_e32 v171, 0xb5c8, v91
	v_fma_f16 v172, v35, s6, -v171
	v_add_f16_e32 v166, v172, v166
	v_mul_f16_e32 v172, 0xbbf7, v92
	v_fma_f16 v173, v37, s16, -v172
	v_add_f16_e32 v166, v173, v166
	v_mul_f16_e32 v173, 0xb836, v94
	v_fma_f16 v8, v27, s16, -v8
	v_fma_f16 v174, v39, s18, -v173
	v_mul_f16_e32 v63, 0xb964, v63
	v_add_f16_sdwa v8, v8, v0 dst_sel:DWORD dst_unused:UNUSED_PAD src0_sel:DWORD src1_sel:WORD_1
	v_fma_f16 v2, v30, s19, -v2
	v_add_f16_e32 v166, v174, v166
	v_fma_f16 v174, v27, s7, v63
	v_mul_f16_e32 v82, 0xbbf7, v82
	v_add_f16_e32 v2, v2, v8
	v_fma_f16 v8, v32, s15, -v9
	v_add_f16_sdwa v174, v174, v0 dst_sel:DWORD dst_unused:UNUSED_PAD src0_sel:DWORD src1_sel:WORD_1
	v_fma_f16 v175, v30, s16, v82
	v_mul_f16_e32 v88, 0xba62, v88
	v_add_f16_e32 v2, v8, v2
	v_fma_f16 v4, v34, s6, -v4
	v_add_f16_e32 v174, v175, v174
	v_fma_f16 v175, v32, s17, v88
	v_mul_f16_e32 v90, 0xb1e1, v90
	v_add_f16_e32 v2, v4, v2
	v_fma_f16 v4, v36, s14, -v5
	v_add_f16_e32 v174, v175, v174
	;; [unrolled: 5-line block ×5, first 2 shown]
	v_fma_f16 v175, v57, s14, v98
	v_mul_f16_e32 v99, 0x35c8, v99
	v_add_f16_e32 v2, v4, v2
	v_fma_f16 v4, v26, s16, v147
	v_add_f16_e32 v174, v175, v174
	v_fma_f16 v175, v58, s6, v99
	v_mul_f16_e32 v61, 0xb964, v61
	v_add_f16_e32 v4, v4, v0
	v_fma_f16 v5, v28, s19, v149
	v_add_f16_e32 v174, v175, v174
	v_fma_f16 v175, v26, s7, -v61
	v_mul_f16_e32 v75, 0xbbf7, v75
	v_add_f16_e32 v4, v5, v4
	v_fma_f16 v5, v29, s15, v150
	v_add_f16_e32 v175, v175, v0
	v_fma_f16 v176, v28, s16, -v75
	;; [unrolled: 5-line block ×3, first 2 shown]
	v_mul_f16_e32 v83, 0xb1e1, v83
	v_add_f16_sdwa v44, v44, v0 dst_sel:DWORD dst_unused:UNUSED_PAD src0_sel:DWORD src1_sel:WORD_1
	v_add_f16_e32 v4, v5, v4
	v_fma_f16 v5, v33, s14, v152
	v_add_f16_e32 v175, v176, v175
	v_fma_f16 v176, v31, s19, -v83
	v_mul_f16_e32 v86, 0x3836, v86
	v_add_f16_e32 v43, v43, v44
	v_add_f16_e32 v4, v5, v4
	v_fma_f16 v5, v35, s18, v153
	v_add_f16_e32 v175, v176, v175
	v_fma_f16 v176, v33, s18, -v86
	v_mul_f16_e32 v91, 0x3bb2, v91
	v_add_f16_e32 v42, v42, v43
	;; [unrolled: 6-line block ×4, first 2 shown]
	v_fma_f16 v41, v27, s17, -v101
	v_add_f16_e32 v4, v5, v4
	v_fma_f16 v5, v27, s14, -v156
	v_add_f16_e32 v175, v176, v175
	v_fma_f16 v176, v39, s6, -v94
	v_add_f16_sdwa v41, v41, v0 dst_sel:DWORD dst_unused:UNUSED_PAD src0_sel:DWORD src1_sel:WORD_1
	v_fma_f16 v42, v30, s15, -v102
	v_add_f16_sdwa v5, v5, v0 dst_sel:DWORD dst_unused:UNUSED_PAD src0_sel:DWORD src1_sel:WORD_1
	v_fma_f16 v6, v30, s17, -v158
	v_add_f16_e32 v175, v176, v175
	v_mul_f16_e32 v176, 0x3b76, v27
	v_add_f16_e32 v41, v42, v41
	v_fma_f16 v42, v32, s6, -v103
	v_add_f16_e32 v5, v6, v5
	v_fma_f16 v6, v32, s19, -v159
	v_add_f16_e32 v60, v60, v176
	v_mul_f16_e32 v176, 0x39e9, v30
	v_add_f16_e32 v41, v42, v41
	v_fma_f16 v42, v34, s18, -v104
	v_add_f16_e32 v5, v6, v5
	v_fma_f16 v6, v34, s15, -v160
	v_add_f16_e32 v70, v70, v176
	v_add_f16_sdwa v60, v60, v0 dst_sel:DWORD dst_unused:UNUSED_PAD src0_sel:DWORD src1_sel:WORD_1
	v_add_f16_e32 v41, v42, v41
	v_fma_f16 v42, v36, s16, -v105
	v_add_f16_e32 v5, v6, v5
	v_fma_f16 v6, v36, s7, -v161
	v_add_f16_e32 v60, v70, v60
	v_mul_f16_e32 v70, 0x3722, v32
	v_add_f16_e32 v41, v42, v41
	v_fma_f16 v42, v38, s7, -v124
	v_add_f16_e32 v5, v6, v5
	v_fma_f16 v6, v38, s6, -v162
	v_add_f16_e32 v70, v72, v70
	v_add_f16_e32 v41, v42, v41
	v_fma_f16 v42, v57, s19, -v125
	v_add_f16_e32 v5, v6, v5
	v_fma_f16 v6, v57, s16, -v163
	v_add_f16_e32 v60, v70, v60
	v_mul_f16_e32 v70, 0x2de8, v34
	v_add_f16_e32 v41, v42, v41
	v_fma_f16 v42, v58, s14, -v126
	v_add_f16_e32 v5, v6, v5
	v_fma_f16 v6, v58, s18, -v164
	v_add_f16_e32 v70, v76, v70
	v_add_f16_e32 v41, v42, v41
	v_fma_f16 v42, v26, s17, v127
	v_add_f16_e32 v5, v6, v5
	v_fma_f16 v6, v26, s14, v165
	v_add_f16_e32 v60, v70, v60
	v_mul_f16_e32 v70, 0xb461, v36
	v_add_f16_e32 v42, v42, v0
	v_fma_f16 v43, v28, s15, v128
	v_add_f16_e32 v6, v6, v0
	v_fma_f16 v7, v28, s17, v167
	v_add_f16_e32 v70, v80, v70
	v_add_f16_e32 v42, v43, v42
	v_fma_f16 v43, v29, s6, v129
	v_add_f16_e32 v6, v7, v6
	v_fma_f16 v7, v29, s19, v168
	v_add_f16_e32 v60, v70, v60
	v_mul_f16_e32 v70, 0xb8d2, v38
	v_add_f16_e32 v42, v43, v42
	v_fma_f16 v43, v31, s18, v130
	v_add_f16_e32 v6, v7, v6
	v_fma_f16 v7, v31, s15, v169
	;; [unrolled: 11-line block ×4, first 2 shown]
	v_add_f16_e32 v70, v89, v70
	v_add_f16_e32 v42, v43, v42
	v_fma_f16 v43, v27, s15, -v135
	v_add_f16_e32 v6, v7, v6
	v_fma_f16 v7, v27, s7, -v63
	v_add_f16_e32 v60, v70, v60
	v_mul_f16_e32 v70, 0x3b76, v26
	v_add_f16_sdwa v43, v43, v0 dst_sel:DWORD dst_unused:UNUSED_PAD src0_sel:DWORD src1_sel:WORD_1
	v_fma_f16 v44, v30, s18, -v136
	v_add_f16_sdwa v7, v7, v0 dst_sel:DWORD dst_unused:UNUSED_PAD src0_sel:DWORD src1_sel:WORD_1
	v_fma_f16 v8, v30, s16, -v82
	v_sub_f16_e32 v59, v70, v59
	v_mul_f16_e32 v70, 0x39e9, v28
	v_add_f16_e32 v43, v44, v43
	v_fma_f16 v44, v32, s7, -v137
	v_add_f16_e32 v7, v8, v7
	v_fma_f16 v8, v32, s17, -v88
	v_sub_f16_e32 v65, v70, v65
	v_add_f16_e32 v59, v59, v0
	v_add_f16_e32 v43, v44, v43
	v_fma_f16 v44, v34, s14, -v138
	v_add_f16_e32 v7, v8, v7
	v_fma_f16 v8, v34, s19, -v90
	v_add_f16_e32 v59, v65, v59
	v_mul_f16_e32 v65, 0x3722, v29
	v_add_f16_e32 v43, v44, v43
	v_fma_f16 v44, v36, s19, -v139
	v_add_f16_e32 v7, v8, v7
	v_fma_f16 v8, v36, s18, -v95
	v_sub_f16_e32 v65, v65, v66
	v_add_f16_e32 v43, v44, v43
	v_fma_f16 v44, v38, s16, -v140
	v_add_f16_e32 v7, v8, v7
	v_fma_f16 v8, v38, s15, -v96
	v_add_f16_e32 v59, v65, v59
	v_mul_f16_e32 v65, 0x2de8, v31
	v_add_f16_e32 v40, v50, v40
	v_add_f16_e32 v43, v44, v43
	v_fma_f16 v44, v57, s6, -v141
	v_add_f16_e32 v7, v8, v7
	v_fma_f16 v8, v57, s14, -v98
	v_sub_f16_e32 v65, v65, v68
	v_add_f16_e32 v40, v49, v40
	v_add_f16_e32 v43, v44, v43
	v_fma_f16 v44, v58, s17, -v142
	v_add_f16_e32 v7, v8, v7
	v_fma_f16 v8, v58, s6, -v99
	v_add_f16_e32 v59, v65, v59
	v_mul_f16_e32 v65, 0xb461, v33
	v_add_f16_e32 v40, v48, v40
	v_add_f16_e32 v43, v44, v43
	v_fma_f16 v44, v26, s15, v143
	v_add_f16_e32 v7, v8, v7
	v_fma_f16 v8, v26, s7, v61
	v_sub_f16_e32 v65, v65, v71
	v_add_f16_e32 v40, v46, v40
	v_add_f16_e32 v44, v44, v0
	;; [unrolled: 1-line block ×3, first 2 shown]
	v_fma_f16 v8, v28, s16, v75
	v_add_f16_e32 v59, v65, v59
	v_mul_f16_e32 v65, 0xb8d2, v35
	v_add_f16_e32 v40, v45, v40
	v_add_f16_e32 v0, v8, v0
	v_fma_f16 v8, v29, s17, v78
	v_sub_f16_e32 v65, v65, v74
	v_add_f16_e32 v40, v47, v40
	v_add_f16_e32 v0, v8, v0
	v_fma_f16 v8, v31, s19, v83
	v_add_f16_e32 v59, v65, v59
	v_mul_f16_e32 v65, 0xbacd, v37
	v_add_f16_e32 v40, v51, v40
	v_add_f16_e32 v0, v8, v0
	v_fma_f16 v8, v33, s18, v86
	v_sub_f16_e32 v65, v65, v77
	v_add_f16_e32 v40, v52, v40
	v_add_f16_e32 v0, v8, v0
	v_fma_f16 v8, v35, s15, v91
	v_add_f16_e32 v59, v65, v59
	v_mul_f16_e32 v65, 0xbbdd, v39
	v_add_f16_e32 v40, v53, v40
	v_add_f16_e32 v0, v8, v0
	v_fma_f16 v8, v37, s14, v92
	v_sub_f16_e32 v65, v65, v79
	v_add_f16_e32 v40, v54, v40
	v_fma_f16 v45, v28, s18, v145
	v_add_f16_e32 v0, v8, v0
	v_fma_f16 v8, v39, s6, v94
	v_add_f16_e32 v59, v65, v59
	v_add_f16_e32 v1, v56, v1
	;; [unrolled: 1-line block ×4, first 2 shown]
	v_fma_f16 v14, v29, s7, v14
	v_add_f16_e32 v0, v8, v0
	v_mul_u32_u24_e32 v8, 17, v24
	v_add_f16_e32 v14, v14, v44
	v_fma_f16 v44, v31, s14, v144
	v_lshlrev_b32_e32 v8, 2, v8
	v_pack_b32_f16 v9, v59, v60
	v_pack_b32_f16 v1, v1, v40
	v_add_f16_e32 v14, v44, v14
	v_fma_f16 v12, v33, s19, v12
	ds_write2_b32 v8, v1, v9 offset1:1
	v_pack_b32_f16 v1, v166, v157
	v_pack_b32_f16 v9, v175, v174
	v_add_f16_e32 v12, v12, v14
	v_fma_f16 v14, v35, s16, v15
	ds_write2_b32 v8, v9, v1 offset0:2 offset1:3
	v_pack_b32_f16 v1, v11, v100
	v_pack_b32_f16 v3, v148, v3
	v_add_f16_e32 v12, v14, v12
	v_fma_f16 v10, v37, s6, v10
	ds_write2_b32 v8, v3, v1 offset0:4 offset1:5
	;; [unrolled: 5-line block ×3, first 2 shown]
	v_pack_b32_f16 v1, v67, v64
	v_pack_b32_f16 v3, v73, v69
	v_add_f16_e32 v10, v12, v10
	ds_write2_b32 v8, v3, v1 offset0:8 offset1:9
	v_pack_b32_f16 v1, v42, v41
	v_pack_b32_f16 v3, v62, v25
	ds_write2_b32 v8, v3, v1 offset0:10 offset1:11
	v_pack_b32_f16 v1, v4, v2
	v_pack_b32_f16 v2, v10, v43
	ds_write2_b32 v8, v2, v1 offset0:12 offset1:13
	v_pack_b32_f16 v0, v0, v7
	v_pack_b32_f16 v1, v6, v5
	s_mov_b32 s6, 0x5040100
	ds_write2_b32 v8, v1, v0 offset0:14 offset1:15
	v_perm_b32 v0, v121, v122, s6
	ds_write_b32 v8, v0 offset:64
.LBB0_7:
	s_or_b64 exec, exec, s[4:5]
	s_movk_i32 s6, 0xf1
	v_mul_lo_u16_sdwa v26, v18, s6 dst_sel:DWORD dst_unused:UNUSED_PAD src0_sel:BYTE_0 src1_sel:DWORD
	v_lshrrev_b16_e32 v126, 12, v26
	v_mul_lo_u16_e32 v26, 17, v126
	v_sub_u16_e32 v127, v18, v26
	v_lshlrev_b16_e32 v26, 1, v127
	v_and_b32_e32 v26, 0xfe, v26
	v_mul_lo_u16_sdwa v28, v24, s6 dst_sel:DWORD dst_unused:UNUSED_PAD src0_sel:BYTE_0 src1_sel:DWORD
	v_add_u32_e32 v95, 0x600, v16
	v_add_u32_e32 v94, 0x1000, v16
	;; [unrolled: 1-line block ×6, first 2 shown]
	v_lshlrev_b32_e32 v26, 2, v26
	v_lshrrev_b16_e32 v130, 12, v28
	s_waitcnt lgkmcnt(0)
	; wave barrier
	s_waitcnt lgkmcnt(0)
	ds_read2_b32 v[10:11], v16 offset1:51
	ds_read2_b32 v[0:1], v95 offset0:126 offset1:177
	ds_read2_b32 v[12:13], v94 offset0:98 offset1:149
	;; [unrolled: 1-line block ×5, first 2 shown]
	s_mov_b64 s[4:5], 0x66
	ds_read2_b32 v[50:51], v25 offset0:202 offset1:253
	ds_read2_b32 v[6:7], v16 offset0:204 offset1:255
	;; [unrolled: 1-line block ×6, first 2 shown]
	global_load_dwordx2 v[26:27], v26, s[0:1]
	v_mul_lo_u16_e32 v28, 17, v130
	v_lshl_add_u64 v[56:57], v[18:19], 0, s[4:5]
	v_sub_u16_e32 v28, v24, v28
	s_mov_b64 s[4:5], 0x99
	v_and_b32_e32 v131, 0xff, v28
	v_mul_lo_u16_sdwa v30, v56, s6 dst_sel:DWORD dst_unused:UNUSED_PAD src0_sel:BYTE_0 src1_sel:DWORD
	v_lshl_add_u64 v[58:59], v[18:19], 0, s[4:5]
	s_mov_b64 s[4:5], 0xcc
	v_lshlrev_b32_e32 v28, 3, v131
	global_load_dwordx2 v[28:29], v28, s[0:1]
	v_lshrrev_b16_e32 v132, 12, v30
	v_lshl_add_u64 v[60:61], v[18:19], 0, s[4:5]
	s_mov_b64 s[4:5], 0xff
	v_mul_lo_u16_e32 v30, 17, v132
	v_lshl_add_u64 v[62:63], v[18:19], 0, s[4:5]
	s_mov_b64 s[4:5], 0x132
	v_sub_u16_e32 v30, v56, v30
	v_lshl_add_u64 v[64:65], v[18:19], 0, s[4:5]
	s_mov_b64 s[4:5], 0x165
	v_and_b32_e32 v133, 0xff, v30
	v_mul_lo_u16_sdwa v32, v58, s6 dst_sel:DWORD dst_unused:UNUSED_PAD src0_sel:BYTE_0 src1_sel:DWORD
	v_lshl_add_u64 v[66:67], v[18:19], 0, s[4:5]
	s_mov_b64 s[4:5], 0x198
	v_lshlrev_b32_e32 v30, 3, v133
	global_load_dwordx2 v[30:31], v30, s[0:1]
	v_lshrrev_b16_e32 v134, 12, v32
	v_lshl_add_u64 v[68:69], v[18:19], 0, s[4:5]
	s_mov_b64 s[4:5], 0x1cb
	v_mul_lo_u16_e32 v32, 17, v134
	v_lshl_add_u64 v[70:71], v[18:19], 0, s[4:5]
	s_mov_b64 s[4:5], 0x1fe
	v_sub_u16_e32 v32, v58, v32
	v_and_b32_e32 v135, 0xff, v32
	v_lshl_add_u64 v[72:73], v[18:19], 0, s[4:5]
	v_mul_lo_u16_sdwa v19, v60, s6 dst_sel:DWORD dst_unused:UNUSED_PAD src0_sel:BYTE_0 src1_sel:DWORD
	v_lshlrev_b32_e32 v32, 3, v135
	global_load_dwordx2 v[32:33], v32, s[0:1]
	v_lshrrev_b16_e32 v19, 12, v19
	v_mul_lo_u16_e32 v34, 17, v19
	v_sub_u16_e32 v34, v60, v34
	s_mov_b32 s4, 0xf0f1
	v_and_b32_e32 v73, 0xff, v34
	v_mul_u32_u24_sdwa v36, v62, s4 dst_sel:DWORD dst_unused:UNUSED_PAD src0_sel:WORD_0 src1_sel:DWORD
	v_lshlrev_b32_e32 v34, 3, v73
	v_lshrrev_b32_e32 v137, 20, v36
	global_load_dwordx2 v[34:35], v34, s[0:1]
	v_mul_lo_u16_e32 v36, 17, v137
	v_sub_u16_e32 v138, v62, v36
	v_lshlrev_b16_e32 v36, 1, v138
	v_mul_u32_u24_sdwa v38, v64, s4 dst_sel:DWORD dst_unused:UNUSED_PAD src0_sel:WORD_0 src1_sel:DWORD
	v_lshlrev_b32_e32 v36, 2, v36
	global_load_dwordx2 v[36:37], v36, s[0:1]
	v_lshrrev_b32_e32 v140, 20, v38
	v_mul_lo_u16_e32 v38, 17, v140
	v_sub_u16_e32 v141, v64, v38
	v_lshlrev_b16_e32 v38, 1, v141
	v_mul_u32_u24_sdwa v40, v66, s4 dst_sel:DWORD dst_unused:UNUSED_PAD src0_sel:WORD_0 src1_sel:DWORD
	v_lshlrev_b32_e32 v38, 2, v38
	global_load_dwordx2 v[38:39], v38, s[0:1]
	v_lshrrev_b32_e32 v143, 20, v40
	;; [unrolled: 7-line block ×3, first 2 shown]
	v_mul_lo_u16_e32 v42, 17, v146
	v_sub_u16_e32 v147, v68, v42
	v_lshlrev_b16_e32 v42, 1, v147
	v_mul_u32_u24_sdwa v44, v70, s4 dst_sel:DWORD dst_unused:UNUSED_PAD src0_sel:WORD_0 src1_sel:DWORD
	v_lshlrev_b32_e32 v42, 2, v42
	v_lshrrev_b32_e32 v149, 20, v44
	global_load_dwordx2 v[42:43], v42, s[0:1]
	v_mul_lo_u16_e32 v44, 17, v149
	v_sub_u16_e32 v150, v70, v44
	v_lshlrev_b16_e32 v44, 1, v150
	v_mul_u32_u24_sdwa v46, v72, s4 dst_sel:DWORD dst_unused:UNUSED_PAD src0_sel:WORD_0 src1_sel:DWORD
	v_lshlrev_b32_e32 v44, 2, v44
	global_load_dwordx2 v[44:45], v44, s[0:1]
	v_lshrrev_b32_e32 v152, 20, v46
	v_mul_lo_u16_e32 v46, 17, v152
	v_sub_u16_e32 v153, v72, v46
	v_lshlrev_b16_e32 v46, 1, v153
	v_lshlrev_b32_e32 v46, 2, v46
	global_load_dwordx2 v[46:47], v46, s[0:1]
	s_waitcnt lgkmcnt(10)
	v_lshrrev_b32_e32 v83, 16, v1
	s_waitcnt vmcnt(10)
	v_mul_f16_sdwa v151, v83, v26 dst_sel:DWORD dst_unused:UNUSED_PAD src0_sel:DWORD src1_sel:WORD_1
	s_waitcnt lgkmcnt(9)
	v_lshrrev_b32_e32 v84, 16, v12
	v_fma_f16 v151, v1, v26, -v151
	v_mul_f16_sdwa v1, v1, v26 dst_sel:DWORD dst_unused:UNUSED_PAD src0_sel:DWORD src1_sel:WORD_1
	v_fma_f16 v1, v83, v26, v1
	v_mul_f16_sdwa v83, v84, v27 dst_sel:DWORD dst_unused:UNUSED_PAD src0_sel:DWORD src1_sel:WORD_1
	s_waitcnt lgkmcnt(8)
	v_lshrrev_b32_e32 v86, 16, v14
	v_fma_f16 v83, v12, v27, -v83
	v_mul_f16_sdwa v12, v12, v27 dst_sel:DWORD dst_unused:UNUSED_PAD src0_sel:DWORD src1_sel:WORD_1
	v_fma_f16 v12, v84, v27, v12
	s_waitcnt vmcnt(9)
	v_mul_f16_sdwa v84, v86, v28 dst_sel:DWORD dst_unused:UNUSED_PAD src0_sel:DWORD src1_sel:WORD_1
	v_lshrrev_b32_e32 v87, 16, v13
	v_fma_f16 v84, v14, v28, -v84
	v_mul_f16_sdwa v14, v14, v28 dst_sel:DWORD dst_unused:UNUSED_PAD src0_sel:DWORD src1_sel:WORD_1
	v_fma_f16 v14, v86, v28, v14
	v_mul_f16_sdwa v86, v87, v29 dst_sel:DWORD dst_unused:UNUSED_PAD src0_sel:DWORD src1_sel:WORD_1
	v_lshrrev_b32_e32 v88, 16, v15
	v_fma_f16 v86, v13, v29, -v86
	v_mul_f16_sdwa v13, v13, v29 dst_sel:DWORD dst_unused:UNUSED_PAD src0_sel:DWORD src1_sel:WORD_1
	v_fma_f16 v13, v87, v29, v13
	s_waitcnt vmcnt(8)
	v_mul_f16_sdwa v87, v88, v30 dst_sel:DWORD dst_unused:UNUSED_PAD src0_sel:DWORD src1_sel:WORD_1
	s_waitcnt lgkmcnt(6)
	v_lshrrev_b32_e32 v89, 16, v48
	v_fma_f16 v87, v15, v30, -v87
	v_mul_f16_sdwa v15, v15, v30 dst_sel:DWORD dst_unused:UNUSED_PAD src0_sel:DWORD src1_sel:WORD_1
	v_fma_f16 v15, v88, v30, v15
	v_mul_f16_sdwa v88, v89, v31 dst_sel:DWORD dst_unused:UNUSED_PAD src0_sel:DWORD src1_sel:WORD_1
	s_waitcnt lgkmcnt(5)
	v_lshrrev_b32_e32 v90, 16, v50
	v_fma_f16 v88, v48, v31, -v88
	v_mul_f16_sdwa v48, v48, v31 dst_sel:DWORD dst_unused:UNUSED_PAD src0_sel:DWORD src1_sel:WORD_1
	v_fma_f16 v48, v89, v31, v48
	s_waitcnt vmcnt(7)
	v_mul_f16_sdwa v89, v90, v32 dst_sel:DWORD dst_unused:UNUSED_PAD src0_sel:DWORD src1_sel:WORD_1
	v_lshrrev_b32_e32 v91, 16, v49
	v_fma_f16 v89, v50, v32, -v89
	v_mul_f16_sdwa v50, v50, v32 dst_sel:DWORD dst_unused:UNUSED_PAD src0_sel:DWORD src1_sel:WORD_1
	v_fma_f16 v50, v90, v32, v50
	v_mul_f16_sdwa v90, v91, v33 dst_sel:DWORD dst_unused:UNUSED_PAD src0_sel:DWORD src1_sel:WORD_1
	v_lshrrev_b32_e32 v92, 16, v51
	v_fma_f16 v90, v49, v33, -v90
	v_mul_f16_sdwa v49, v49, v33 dst_sel:DWORD dst_unused:UNUSED_PAD src0_sel:DWORD src1_sel:WORD_1
	v_fma_f16 v49, v91, v33, v49
	s_waitcnt vmcnt(6)
	v_mul_f16_sdwa v91, v92, v34 dst_sel:DWORD dst_unused:UNUSED_PAD src0_sel:DWORD src1_sel:WORD_1
	s_waitcnt lgkmcnt(3)
	v_lshrrev_b32_e32 v93, 16, v52
	v_fma_f16 v91, v51, v34, -v91
	v_mul_f16_sdwa v51, v51, v34 dst_sel:DWORD dst_unused:UNUSED_PAD src0_sel:DWORD src1_sel:WORD_1
	v_fma_f16 v51, v92, v34, v51
	v_mul_f16_sdwa v92, v93, v35 dst_sel:DWORD dst_unused:UNUSED_PAD src0_sel:DWORD src1_sel:WORD_1
	s_waitcnt lgkmcnt(2)
	v_lshrrev_b32_e32 v99, 16, v54
	v_fma_f16 v92, v52, v35, -v92
	v_mul_f16_sdwa v52, v52, v35 dst_sel:DWORD dst_unused:UNUSED_PAD src0_sel:DWORD src1_sel:WORD_1
	v_fma_f16 v52, v93, v35, v52
	s_waitcnt vmcnt(5)
	v_mul_f16_sdwa v93, v99, v36 dst_sel:DWORD dst_unused:UNUSED_PAD src0_sel:DWORD src1_sel:WORD_1
	v_lshrrev_b32_e32 v101, 16, v53
	v_fma_f16 v93, v54, v36, -v93
	v_mul_f16_sdwa v54, v54, v36 dst_sel:DWORD dst_unused:UNUSED_PAD src0_sel:DWORD src1_sel:WORD_1
	ds_read2_b32 v[76:77], v96 offset0:150 offset1:201
	v_fma_f16 v54, v99, v36, v54
	v_mul_f16_sdwa v99, v101, v37 dst_sel:DWORD dst_unused:UNUSED_PAD src0_sel:DWORD src1_sel:WORD_1
	v_lshrrev_b32_e32 v102, 16, v55
	v_fma_f16 v99, v53, v37, -v99
	v_mul_f16_sdwa v53, v53, v37 dst_sel:DWORD dst_unused:UNUSED_PAD src0_sel:DWORD src1_sel:WORD_1
	v_fma_f16 v53, v101, v37, v53
	s_waitcnt vmcnt(4)
	v_mul_f16_sdwa v101, v102, v38 dst_sel:DWORD dst_unused:UNUSED_PAD src0_sel:DWORD src1_sel:WORD_1
	s_waitcnt lgkmcnt(1)
	v_lshrrev_b32_e32 v103, 16, v74
	v_fma_f16 v101, v55, v38, -v101
	v_mul_f16_sdwa v55, v55, v38 dst_sel:DWORD dst_unused:UNUSED_PAD src0_sel:DWORD src1_sel:WORD_1
	v_fma_f16 v55, v102, v38, v55
	v_mul_f16_sdwa v102, v103, v39 dst_sel:DWORD dst_unused:UNUSED_PAD src0_sel:DWORD src1_sel:WORD_1
	s_waitcnt lgkmcnt(0)
	v_lshrrev_b32_e32 v104, 16, v76
	v_add_u32_e32 v98, 0x1600, v16
	v_fma_f16 v102, v74, v39, -v102
	v_mul_f16_sdwa v74, v74, v39 dst_sel:DWORD dst_unused:UNUSED_PAD src0_sel:DWORD src1_sel:WORD_1
	ds_read2_b32 v[78:79], v98 offset0:122 offset1:173
	v_fma_f16 v74, v103, v39, v74
	s_waitcnt vmcnt(3)
	v_mul_f16_sdwa v103, v104, v40 dst_sel:DWORD dst_unused:UNUSED_PAD src0_sel:DWORD src1_sel:WORD_1
	v_lshrrev_b32_e32 v105, 16, v75
	v_add_u32_e32 v100, 0xe00, v16
	v_fma_f16 v103, v76, v40, -v103
	v_mul_f16_sdwa v76, v76, v40 dst_sel:DWORD dst_unused:UNUSED_PAD src0_sel:DWORD src1_sel:WORD_1
	ds_read2_b32 v[80:81], v100 offset0:124 offset1:175
	v_fma_f16 v76, v104, v40, v76
	v_mul_f16_sdwa v104, v105, v41 dst_sel:DWORD dst_unused:UNUSED_PAD src0_sel:DWORD src1_sel:WORD_1
	v_lshrrev_b32_e32 v124, 16, v77
	v_fma_f16 v104, v75, v41, -v104
	v_mul_f16_sdwa v75, v75, v41 dst_sel:DWORD dst_unused:UNUSED_PAD src0_sel:DWORD src1_sel:WORD_1
	v_fma_f16 v75, v105, v41, v75
	s_waitcnt vmcnt(2)
	v_mul_f16_sdwa v105, v124, v42 dst_sel:DWORD dst_unused:UNUSED_PAD src0_sel:DWORD src1_sel:WORD_1
	s_waitcnt lgkmcnt(1)
	v_lshrrev_b32_e32 v125, 16, v78
	v_fma_f16 v105, v77, v42, -v105
	v_mul_f16_sdwa v77, v77, v42 dst_sel:DWORD dst_unused:UNUSED_PAD src0_sel:DWORD src1_sel:WORD_1
	v_fma_f16 v77, v124, v42, v77
	v_mul_f16_sdwa v124, v125, v43 dst_sel:DWORD dst_unused:UNUSED_PAD src0_sel:DWORD src1_sel:WORD_1
	s_waitcnt lgkmcnt(0)
	v_lshrrev_b32_e32 v128, 16, v80
	v_fma_f16 v124, v78, v43, -v124
	v_mul_f16_sdwa v78, v78, v43 dst_sel:DWORD dst_unused:UNUSED_PAD src0_sel:DWORD src1_sel:WORD_1
	ds_read_b32 v145, v16 offset:6528
	v_fma_f16 v78, v125, v43, v78
	s_waitcnt vmcnt(1)
	v_mul_f16_sdwa v125, v128, v44 dst_sel:DWORD dst_unused:UNUSED_PAD src0_sel:DWORD src1_sel:WORD_1
	v_lshrrev_b32_e32 v129, 16, v79
	v_fma_f16 v125, v80, v44, -v125
	v_mul_f16_sdwa v80, v80, v44 dst_sel:DWORD dst_unused:UNUSED_PAD src0_sel:DWORD src1_sel:WORD_1
	v_fma_f16 v80, v128, v44, v80
	v_mul_f16_sdwa v128, v129, v45 dst_sel:DWORD dst_unused:UNUSED_PAD src0_sel:DWORD src1_sel:WORD_1
	v_lshrrev_b32_e32 v142, 16, v81
	v_fma_f16 v128, v79, v45, -v128
	v_mul_f16_sdwa v79, v79, v45 dst_sel:DWORD dst_unused:UNUSED_PAD src0_sel:DWORD src1_sel:WORD_1
	v_fma_f16 v79, v129, v45, v79
	s_waitcnt vmcnt(0)
	v_mul_f16_sdwa v129, v142, v46 dst_sel:DWORD dst_unused:UNUSED_PAD src0_sel:DWORD src1_sel:WORD_1
	s_waitcnt lgkmcnt(0)
	v_lshrrev_b32_e32 v148, 16, v145
	v_fma_f16 v129, v81, v46, -v129
	v_mul_f16_sdwa v81, v81, v46 dst_sel:DWORD dst_unused:UNUSED_PAD src0_sel:DWORD src1_sel:WORD_1
	v_fma_f16 v81, v142, v46, v81
	v_mul_f16_sdwa v142, v148, v47 dst_sel:DWORD dst_unused:UNUSED_PAD src0_sel:DWORD src1_sel:WORD_1
	v_fma_f16 v142, v145, v47, -v142
	v_mul_f16_sdwa v145, v145, v47 dst_sel:DWORD dst_unused:UNUSED_PAD src0_sel:DWORD src1_sel:WORD_1
	v_add_f16_e32 v154, v151, v83
	v_lshrrev_b32_e32 v82, 16, v10
	v_fma_f16 v145, v148, v47, v145
	v_add_f16_e32 v148, v10, v151
	v_fma_f16 v10, v154, -0.5, v10
	v_sub_f16_e32 v154, v1, v12
	s_movk_i32 s6, 0x3aee
	s_mov_b32 s7, 0xbaee
	v_fma_f16 v155, v154, s6, v10
	v_fma_f16 v10, v154, s7, v10
	v_add_f16_e32 v154, v82, v1
	v_add_f16_e32 v1, v1, v12
	;; [unrolled: 1-line block ×4, first 2 shown]
	v_fma_f16 v1, v1, -0.5, v82
	v_sub_f16_e32 v12, v151, v83
	v_add_f16_e32 v83, v84, v86
	v_lshrrev_b32_e32 v85, 16, v11
	v_fma_f16 v82, v12, s7, v1
	v_fma_f16 v1, v12, s6, v1
	v_add_f16_e32 v12, v11, v84
	v_fma_f16 v11, v83, -0.5, v11
	v_sub_f16_e32 v83, v14, v13
	v_fma_f16 v151, v83, s6, v11
	v_fma_f16 v11, v83, s7, v11
	v_add_f16_e32 v83, v85, v14
	v_add_f16_e32 v83, v83, v13
	v_add_f16_e32 v13, v14, v13
	v_fma_f16 v13, v13, -0.5, v85
	v_sub_f16_e32 v14, v84, v86
	v_add_f16_e32 v85, v87, v88
	v_lshrrev_b32_e32 v57, 16, v8
	v_fma_f16 v84, v14, s7, v13
	v_fma_f16 v13, v14, s6, v13
	v_add_f16_e32 v14, v8, v87
	v_fma_f16 v8, v85, -0.5, v8
	v_sub_f16_e32 v85, v15, v48
	v_add_f16_e32 v12, v12, v86
	v_fma_f16 v86, v85, s6, v8
	v_fma_f16 v8, v85, s7, v8
	v_add_f16_e32 v85, v57, v15
	v_add_f16_e32 v15, v15, v48
	v_add_f16_e32 v85, v85, v48
	v_fma_f16 v15, v15, -0.5, v57
	v_sub_f16_e32 v48, v87, v88
	v_add_f16_e32 v87, v89, v90
	v_lshrrev_b32_e32 v59, 16, v9
	v_fma_f16 v57, v48, s7, v15
	v_fma_f16 v15, v48, s6, v15
	v_add_f16_e32 v48, v9, v89
	v_fma_f16 v9, v87, -0.5, v9
	v_sub_f16_e32 v87, v50, v49
	v_add_f16_e32 v14, v14, v88
	;; [unrolled: 15-line block ×5, first 2 shown]
	v_fma_f16 v99, v93, s6, v4
	v_fma_f16 v4, v93, s7, v4
	v_add_f16_e32 v93, v65, v55
	v_add_f16_e32 v55, v55, v74
	ds_read2_b32 v[2:3], v97 offset0:152 offset1:203
	v_fma_f16 v55, v55, -0.5, v65
	v_sub_f16_e32 v65, v101, v102
	v_add_f16_e32 v101, v103, v104
	v_lshrrev_b32_e32 v67, 16, v5
	v_add_f16_e32 v93, v93, v74
	v_fma_f16 v74, v65, s7, v55
	v_fma_f16 v55, v65, s6, v55
	v_add_f16_e32 v65, v5, v103
	v_fma_f16 v5, v101, -0.5, v5
	v_sub_f16_e32 v101, v76, v75
	v_add_f16_e32 v54, v54, v102
	v_fma_f16 v102, v101, s6, v5
	v_fma_f16 v5, v101, s7, v5
	v_add_f16_e32 v101, v67, v76
	v_add_f16_e32 v101, v101, v75
	;; [unrolled: 1-line block ×3, first 2 shown]
	v_fma_f16 v67, v75, -0.5, v67
	v_sub_f16_e32 v75, v103, v104
	v_add_f16_e32 v103, v105, v124
	s_waitcnt lgkmcnt(0)
	v_lshrrev_b32_e32 v69, 16, v2
	v_fma_f16 v76, v75, s7, v67
	v_fma_f16 v67, v75, s6, v67
	v_add_f16_e32 v75, v2, v105
	v_fma_f16 v2, v103, -0.5, v2
	v_sub_f16_e32 v103, v77, v78
	v_add_f16_e32 v65, v65, v104
	v_fma_f16 v104, v103, s6, v2
	v_fma_f16 v2, v103, s7, v2
	v_add_f16_e32 v103, v69, v77
	v_add_f16_e32 v77, v77, v78
	v_fma_f16 v69, v77, -0.5, v69
	v_sub_f16_e32 v77, v105, v124
	v_add_f16_e32 v105, v125, v128
	v_lshrrev_b32_e32 v71, 16, v3
	v_add_f16_e32 v103, v103, v78
	v_fma_f16 v78, v77, s7, v69
	v_fma_f16 v69, v77, s6, v69
	v_add_f16_e32 v77, v3, v125
	v_fma_f16 v3, v105, -0.5, v3
	v_sub_f16_e32 v105, v80, v79
	v_fma_f16 v156, v105, s6, v3
	v_fma_f16 v3, v105, s7, v3
	v_add_f16_e32 v105, v71, v80
	v_add_f16_e32 v105, v105, v79
	;; [unrolled: 1-line block ×4, first 2 shown]
	v_fma_f16 v71, v79, -0.5, v71
	v_sub_f16_e32 v79, v125, v128
	v_add_f16_e32 v124, v129, v142
	v_lshrrev_b32_e32 v139, 16, v0
	v_fma_f16 v80, v79, s7, v71
	v_fma_f16 v71, v79, s6, v71
	v_add_f16_e32 v79, v0, v129
	v_fma_f16 v0, v124, -0.5, v0
	v_sub_f16_e32 v124, v81, v145
	v_fma_f16 v157, v124, s6, v0
	v_fma_f16 v0, v124, s7, v0
	v_add_f16_e32 v124, v139, v81
	v_add_f16_e32 v81, v81, v145
	;; [unrolled: 1-line block ×3, first 2 shown]
	v_fma_f16 v81, v81, -0.5, v139
	v_sub_f16_e32 v124, v129, v142
	v_fma_f16 v139, v124, s7, v81
	v_fma_f16 v81, v124, s6, v81
	v_mad_legacy_u16 v124, v126, 51, v127
	v_mov_b32_e32 v125, 2
	v_lshlrev_b32_sdwa v205, v125, v124 dst_sel:DWORD dst_unused:UNUSED_PAD src0_sel:DWORD src1_sel:BYTE_0
	v_pack_b32_f16 v1, v10, v1
	s_waitcnt lgkmcnt(0)
	; wave barrier
	ds_write_b32 v205, v1 offset:136
	v_mul_u32_u24_e32 v1, 51, v130
	v_pack_b32_f16 v125, v148, v154
	v_pack_b32_f16 v82, v155, v82
	v_add_lshl_u32 v206, v1, v131, 2
	v_pack_b32_f16 v1, v12, v83
	v_pack_b32_f16 v10, v151, v84
	ds_write2_b32 v205, v125, v82 offset1:17
	ds_write2_b32 v206, v1, v10 offset1:17
	v_pack_b32_f16 v1, v11, v13
	ds_write_b32 v206, v1 offset:136
	v_mul_u32_u24_e32 v1, 51, v132
	v_add_lshl_u32 v207, v1, v133, 2
	v_pack_b32_f16 v1, v14, v85
	v_pack_b32_f16 v10, v86, v57
	ds_write2_b32 v207, v1, v10 offset1:17
	v_pack_b32_f16 v1, v8, v15
	ds_write_b32 v207, v1 offset:136
	v_mul_u32_u24_e32 v1, 51, v134
	v_add_lshl_u32 v208, v1, v135, 2
	v_pack_b32_f16 v1, v48, v87
	v_pack_b32_f16 v8, v88, v59
	;; [unrolled: 7-line block ×3, first 2 shown]
	ds_write2_b32 v209, v1, v8 offset1:17
	v_pack_b32_f16 v1, v6, v51
	ds_write_b32 v209, v1 offset:136
	v_mad_legacy_u16 v1, v137, 51, v138
	v_lshlrev_b32_e32 v210, 2, v1
	v_pack_b32_f16 v1, v52, v91
	v_pack_b32_f16 v6, v92, v63
	ds_write2_b32 v210, v1, v6 offset1:17
	v_pack_b32_f16 v1, v7, v53
	ds_write_b32 v210, v1 offset:136
	v_mad_legacy_u16 v1, v140, 51, v141
	v_lshlrev_b32_e32 v211, 2, v1
	v_pack_b32_f16 v1, v54, v93
	v_pack_b32_f16 v6, v99, v74
	;; [unrolled: 7-line block ×4, first 2 shown]
	ds_write2_b32 v213, v1, v4 offset1:17
	v_pack_b32_f16 v1, v2, v69
	v_add_f16_e32 v77, v77, v128
	ds_write_b32 v213, v1 offset:136
	v_mad_legacy_u16 v1, v149, 51, v150
	v_lshlrev_b32_e32 v214, 2, v1
	v_pack_b32_f16 v1, v77, v105
	v_pack_b32_f16 v2, v156, v80
	ds_write2_b32 v214, v1, v2 offset1:17
	v_pack_b32_f16 v1, v3, v71
	v_add_f16_e32 v79, v79, v142
	ds_write_b32 v214, v1 offset:136
	v_mad_legacy_u16 v1, v152, 51, v153
	v_lshlrev_b32_e32 v134, 2, v1
	v_pack_b32_f16 v1, v79, v158
	v_pack_b32_f16 v2, v157, v139
	;; [unrolled: 1-line block ×3, first 2 shown]
	v_mad_u64_u32 v[8:9], s[4:5], v18, 40, s[0:1]
	ds_write2_b32 v134, v1, v2 offset1:17
	ds_write_b32 v134, v0 offset:136
	s_waitcnt lgkmcnt(0)
	; wave barrier
	s_waitcnt lgkmcnt(0)
	global_load_dwordx4 v[0:3], v[8:9], off offset:136
	global_load_dwordx4 v[4:7], v[8:9], off offset:152
	ds_read2_b32 v[52:53], v16 offset0:102 offset1:153
	ds_read2_b32 v[74:75], v97 offset0:50 offset1:101
	;; [unrolled: 1-line block ×3, first 2 shown]
	ds_read2_b32 v[54:55], v16 offset1:51
	ds_read2_b32 v[78:79], v25 offset0:100 offset1:151
	ds_read2_b32 v[80:81], v25 offset0:202 offset1:253
	;; [unrolled: 1-line block ×3, first 2 shown]
	global_load_dwordx2 v[48:49], v[8:9], off offset:168
	s_waitcnt lgkmcnt(6)
	v_lshrrev_b32_e32 v12, 16, v53
	s_movk_i32 s4, 0xa1
	s_waitcnt lgkmcnt(5)
	v_lshrrev_b32_e32 v13, 16, v74
	ds_read2_b32 v[84:85], v100 offset0:124 offset1:175
	ds_read2_b32 v[86:87], v94 offset0:200 offset1:251
	;; [unrolled: 1-line block ×5, first 2 shown]
	s_waitcnt lgkmcnt(9)
	v_lshrrev_b32_e32 v14, 16, v77
	s_waitcnt lgkmcnt(7)
	v_lshrrev_b32_e32 v15, 16, v78
	;; [unrolled: 2-line block ×8, first 2 shown]
	ds_read2_b32 v[102:103], v95 offset0:126 offset1:177
	s_waitcnt lgkmcnt(1)
	v_lshrrev_b32_e32 v69, 16, v92
	v_lshrrev_b32_e32 v71, 16, v75
	ds_read2_b32 v[104:105], v96 offset0:48 offset1:99
	v_lshrrev_b32_e32 v99, 16, v79
	s_waitcnt lgkmcnt(1)
	v_lshrrev_b32_e32 v73, 16, v102
	ds_read2_b32 v[140:141], v94 offset0:98 offset1:149
	v_lshrrev_b32_e32 v135, 16, v83
	s_waitcnt lgkmcnt(1)
	;; [unrolled: 4-line block ×3, first 2 shown]
	v_lshrrev_b32_e32 v137, 16, v140
	v_lshrrev_b32_e32 v146, 16, v91
	;; [unrolled: 1-line block ×3, first 2 shown]
	s_waitcnt lgkmcnt(0)
	v_lshrrev_b32_e32 v145, 16, v152
	v_lshrrev_b32_e32 v154, 16, v76
	;; [unrolled: 1-line block ×7, first 2 shown]
	ds_read_b32 v158, v16 offset:6528
	v_lshrrev_b32_e32 v161, 16, v88
	v_lshrrev_b32_e32 v162, 16, v153
	s_movk_i32 s14, 0x3abb
	s_mov_b32 s15, 0xb93d
	s_waitcnt lgkmcnt(0)
	v_lshrrev_b32_e32 v163, 16, v158
	s_mov_b32 s16, 0xbbad
	v_lshlrev_b32_e32 v58, 3, v58
	v_lshlrev_b32_e32 v60, 3, v60
	;; [unrolled: 1-line block ×8, first 2 shown]
	s_waitcnt vmcnt(2)
	v_mul_f16_sdwa v8, v12, v0 dst_sel:DWORD dst_unused:UNUSED_PAD src0_sel:DWORD src1_sel:WORD_1
	v_fma_f16 v164, v53, v0, -v8
	v_mul_lo_u16_sdwa v8, v56, s4 dst_sel:DWORD dst_unused:UNUSED_PAD src0_sel:BYTE_0 src1_sel:DWORD
	v_lshrrev_b16_e32 v8, 13, v8
	v_mul_lo_u16_e32 v8, 51, v8
	v_sub_u16_e32 v8, v56, v8
	v_and_b32_e32 v19, 0xff, v8
	v_mad_u64_u32 v[50:51], s[4:5], v19, 40, s[0:1]
	v_mul_f16_sdwa v53, v53, v0 dst_sel:DWORD dst_unused:UNUSED_PAD src0_sel:DWORD src1_sel:WORD_1
	global_load_dwordx4 v[8:11], v[50:51], off offset:136
	v_fma_f16 v165, v12, v0, v53
	v_mul_f16_sdwa v12, v13, v1 dst_sel:DWORD dst_unused:UNUSED_PAD src0_sel:DWORD src1_sel:WORD_1
	v_fma_f16 v166, v74, v1, -v12
	v_mul_f16_sdwa v12, v74, v1 dst_sel:DWORD dst_unused:UNUSED_PAD src0_sel:DWORD src1_sel:WORD_1
	v_fma_f16 v167, v13, v1, v12
	v_mul_f16_sdwa v12, v14, v2 dst_sel:DWORD dst_unused:UNUSED_PAD src0_sel:DWORD src1_sel:WORD_1
	v_fma_f16 v168, v77, v2, -v12
	v_mul_f16_sdwa v12, v77, v2 dst_sel:DWORD dst_unused:UNUSED_PAD src0_sel:DWORD src1_sel:WORD_1
	;; [unrolled: 4-line block ×3, first 2 shown]
	v_fma_f16 v171, v15, v3, v12
	s_waitcnt vmcnt(2)
	v_mul_f16_sdwa v12, v57, v4 dst_sel:DWORD dst_unused:UNUSED_PAD src0_sel:DWORD src1_sel:WORD_1
	v_fma_f16 v172, v81, v4, -v12
	global_load_dwordx4 v[12:15], v[50:51], off offset:152
	v_mul_f16_sdwa v53, v81, v4 dst_sel:DWORD dst_unused:UNUSED_PAD src0_sel:DWORD src1_sel:WORD_1
	global_load_dwordx2 v[50:51], v[50:51], off offset:168
	v_fma_f16 v173, v57, v4, v53
	v_mul_f16_sdwa v53, v59, v5 dst_sel:DWORD dst_unused:UNUSED_PAD src0_sel:DWORD src1_sel:WORD_1
	v_fma_f16 v174, v82, v5, -v53
	v_mul_f16_sdwa v53, v82, v5 dst_sel:DWORD dst_unused:UNUSED_PAD src0_sel:DWORD src1_sel:WORD_1
	v_fma_f16 v175, v59, v5, v53
	v_mul_f16_sdwa v53, v61, v6 dst_sel:DWORD dst_unused:UNUSED_PAD src0_sel:DWORD src1_sel:WORD_1
	v_fma_f16 v176, v85, v6, -v53
	v_mul_f16_sdwa v53, v85, v6 dst_sel:DWORD dst_unused:UNUSED_PAD src0_sel:DWORD src1_sel:WORD_1
	;; [unrolled: 4-line block ×3, first 2 shown]
	v_fma_f16 v86, v63, v7, v53
	s_waitcnt vmcnt(3)
	v_mul_f16_sdwa v53, v65, v48 dst_sel:DWORD dst_unused:UNUSED_PAD src0_sel:DWORD src1_sel:WORD_1
	v_fma_f16 v178, v89, v48, -v53
	v_mul_f16_sdwa v53, v89, v48 dst_sel:DWORD dst_unused:UNUSED_PAD src0_sel:DWORD src1_sel:WORD_1
	v_fma_f16 v89, v65, v48, v53
	v_mul_f16_sdwa v53, v67, v49 dst_sel:DWORD dst_unused:UNUSED_PAD src0_sel:DWORD src1_sel:WORD_1
	v_fma_f16 v179, v90, v49, -v53
	v_mul_f16_sdwa v53, v90, v49 dst_sel:DWORD dst_unused:UNUSED_PAD src0_sel:DWORD src1_sel:WORD_1
	v_fma_f16 v90, v67, v49, v53
	;; [unrolled: 4-line block ×12, first 2 shown]
	s_waitcnt vmcnt(2)
	v_mul_f16_sdwa v53, v151, v8 dst_sel:DWORD dst_unused:UNUSED_PAD src0_sel:DWORD src1_sel:WORD_1
	v_fma_f16 v82, v93, v8, -v53
	v_mul_f16_sdwa v53, v93, v8 dst_sel:DWORD dst_unused:UNUSED_PAD src0_sel:DWORD src1_sel:WORD_1
	v_fma_f16 v83, v151, v8, v53
	v_mul_f16_sdwa v53, v154, v9 dst_sel:DWORD dst_unused:UNUSED_PAD src0_sel:DWORD src1_sel:WORD_1
	v_fma_f16 v78, v76, v9, -v53
	v_mul_f16_sdwa v53, v76, v9 dst_sel:DWORD dst_unused:UNUSED_PAD src0_sel:DWORD src1_sel:WORD_1
	v_fma_f16 v79, v154, v9, v53
	v_mul_f16_sdwa v53, v155, v10 dst_sel:DWORD dst_unused:UNUSED_PAD src0_sel:DWORD src1_sel:WORD_1
	v_fma_f16 v74, v103, v10, -v53
	v_mul_f16_sdwa v53, v103, v10 dst_sel:DWORD dst_unused:UNUSED_PAD src0_sel:DWORD src1_sel:WORD_1
	v_fma_f16 v75, v155, v10, v53
	v_mul_f16_sdwa v53, v156, v11 dst_sel:DWORD dst_unused:UNUSED_PAD src0_sel:DWORD src1_sel:WORD_1
	v_fma_f16 v67, v80, v11, -v53
	v_mul_f16_sdwa v53, v80, v11 dst_sel:DWORD dst_unused:UNUSED_PAD src0_sel:DWORD src1_sel:WORD_1
	v_fma_f16 v69, v156, v11, v53
	s_waitcnt vmcnt(1)
	v_mul_f16_sdwa v53, v157, v12 dst_sel:DWORD dst_unused:UNUSED_PAD src0_sel:DWORD src1_sel:WORD_1
	v_add_f16_sdwa v57, v54, v165 dst_sel:DWORD dst_unused:UNUSED_PAD src0_sel:WORD_1 src1_sel:DWORD
	v_fma_f16 v59, v105, v12, -v53
	v_mul_f16_sdwa v53, v105, v12 dst_sel:DWORD dst_unused:UNUSED_PAD src0_sel:DWORD src1_sel:WORD_1
	v_add_f16_e32 v57, v57, v167
	v_fma_f16 v61, v157, v12, v53
	v_mul_f16_sdwa v53, v159, v13 dst_sel:DWORD dst_unused:UNUSED_PAD src0_sel:DWORD src1_sel:WORD_1
	v_add_f16_e32 v57, v57, v169
	v_fma_f16 v63, v84, v13, -v53
	v_mul_f16_sdwa v53, v84, v13 dst_sel:DWORD dst_unused:UNUSED_PAD src0_sel:DWORD src1_sel:WORD_1
	v_add_f16_e32 v57, v57, v171
	v_fma_f16 v65, v159, v13, v53
	v_mul_f16_sdwa v53, v160, v14 dst_sel:DWORD dst_unused:UNUSED_PAD src0_sel:DWORD src1_sel:WORD_1
	v_add_f16_e32 v57, v57, v173
	;; [unrolled: 6-line block ×3, first 2 shown]
	v_fma_f16 v76, v88, v15, -v53
	v_mul_f16_sdwa v53, v88, v15 dst_sel:DWORD dst_unused:UNUSED_PAD src0_sel:DWORD src1_sel:WORD_1
	v_add_f16_e32 v57, v57, v86
	v_fma_f16 v77, v161, v15, v53
	s_waitcnt vmcnt(0)
	v_mul_f16_sdwa v53, v162, v50 dst_sel:DWORD dst_unused:UNUSED_PAD src0_sel:DWORD src1_sel:WORD_1
	v_add_f16_e32 v57, v57, v89
	v_fma_f16 v80, v153, v50, -v53
	v_mul_f16_sdwa v53, v153, v50 dst_sel:DWORD dst_unused:UNUSED_PAD src0_sel:DWORD src1_sel:WORD_1
	v_add_f16_e32 v57, v57, v90
	v_add_f16_e32 v87, v165, v90
	v_sub_f16_e32 v88, v164, v179
	v_sub_f16_e32 v90, v165, v90
	v_fma_f16 v81, v162, v50, v53
	v_mul_f16_sdwa v53, v163, v51 dst_sel:DWORD dst_unused:UNUSED_PAD src0_sel:DWORD src1_sel:WORD_1
	v_add_f16_e32 v84, v164, v179
	v_mul_f16_e32 v91, 0xb853, v90
	v_mul_f16_e32 v93, 0xb853, v88
	;; [unrolled: 1-line block ×3, first 2 shown]
	s_movk_i32 s4, 0x36a6
	v_mul_f16_e32 v105, 0xbb47, v88
	v_mul_f16_e32 v137, 0xbbeb, v90
	s_mov_b32 s5, 0xb08e
	v_mul_f16_e32 v141, 0xbbeb, v88
	v_mul_f16_e32 v145, 0xba0c, v90
	;; [unrolled: 1-line block ×5, first 2 shown]
	v_fma_f16 v101, v158, v51, -v53
	v_mul_f16_sdwa v53, v158, v51 dst_sel:DWORD dst_unused:UNUSED_PAD src0_sel:DWORD src1_sel:WORD_1
	v_fma_f16 v92, v84, s14, -v91
	v_fma_f16 v99, v87, s14, v93
	v_fma_f16 v91, v84, s14, v91
	v_fma_f16 v93, v87, s14, -v93
	v_fma_f16 v104, v84, s4, -v103
	v_fma_f16 v135, v87, s4, v105
	v_fma_f16 v103, v84, s4, v103
	v_fma_f16 v105, v87, s4, -v105
	;; [unrolled: 4-line block ×5, first 2 shown]
	v_add_f16_e32 v88, v167, v89
	v_sub_f16_e32 v89, v167, v89
	v_fma_f16 v102, v163, v51, v53
	v_add_f16_e32 v53, v54, v164
	v_add_f16_e32 v92, v54, v92
	v_add_f16_sdwa v99, v54, v99 dst_sel:DWORD dst_unused:UNUSED_PAD src0_sel:WORD_1 src1_sel:DWORD
	v_add_f16_e32 v91, v54, v91
	v_add_f16_sdwa v93, v54, v93 dst_sel:DWORD dst_unused:UNUSED_PAD src0_sel:WORD_1 src1_sel:DWORD
	;; [unrolled: 2-line block ×10, first 2 shown]
	v_add_f16_e32 v87, v166, v178
	v_mul_f16_e32 v156, 0xbb47, v89
	v_sub_f16_e32 v90, v166, v178
	v_fma_f16 v157, v87, s4, -v156
	v_add_f16_e32 v92, v157, v92
	v_mul_f16_e32 v157, 0xbb47, v90
	v_fma_f16 v156, v87, s4, v156
	v_add_f16_e32 v91, v156, v91
	v_fma_f16 v156, v88, s4, -v157
	v_add_f16_e32 v93, v156, v93
	v_mul_f16_e32 v156, 0xba0c, v89
	v_fma_f16 v158, v88, s4, v157
	v_fma_f16 v157, v87, s15, -v156
	v_add_f16_e32 v104, v157, v104
	v_mul_f16_e32 v157, 0xba0c, v90
	v_fma_f16 v156, v87, s15, v156
	v_add_f16_e32 v103, v156, v103
	v_fma_f16 v156, v88, s15, -v157
	v_add_f16_e32 v105, v156, v105
	v_mul_f16_e32 v156, 0x3482, v89
	v_add_f16_e32 v99, v158, v99
	v_fma_f16 v158, v88, s15, v157
	v_fma_f16 v157, v87, s16, -v156
	v_add_f16_e32 v140, v157, v140
	v_mul_f16_e32 v157, 0x3482, v90
	v_fma_f16 v156, v87, s16, v156
	v_add_f16_e32 v137, v156, v137
	v_fma_f16 v156, v88, s16, -v157
	v_add_f16_e32 v141, v156, v141
	v_mul_f16_e32 v156, 0x3beb, v89
	v_add_f16_e32 v135, v158, v135
	v_fma_f16 v158, v88, s16, v157
	v_fma_f16 v157, v87, s5, -v156
	v_add_f16_e32 v146, v157, v146
	v_mul_f16_e32 v157, 0x3beb, v90
	v_fma_f16 v156, v87, s5, v156
	v_add_f16_e32 v145, v156, v145
	v_fma_f16 v156, v88, s5, -v157
	v_mul_f16_e32 v89, 0x3853, v89
	v_add_f16_e32 v151, v156, v151
	v_fma_f16 v156, v87, s14, -v89
	v_mul_f16_e32 v90, 0x3853, v90
	v_fma_f16 v87, v87, s14, v89
	v_add_f16_e32 v142, v158, v142
	v_fma_f16 v158, v88, s5, v157
	v_add_f16_e32 v154, v156, v154
	v_fma_f16 v156, v88, s14, v90
	v_add_f16_e32 v84, v87, v84
	v_fma_f16 v87, v88, s14, -v90
	v_add_f16_e32 v88, v169, v86
	v_sub_f16_e32 v86, v169, v86
	v_add_f16_e32 v54, v87, v54
	v_add_f16_e32 v87, v168, v177
	v_mul_f16_e32 v90, 0xbbeb, v86
	v_add_f16_e32 v155, v156, v155
	v_sub_f16_e32 v89, v168, v177
	v_fma_f16 v156, v87, s5, -v90
	v_add_f16_e32 v92, v156, v92
	v_mul_f16_e32 v156, 0xbbeb, v89
	v_fma_f16 v90, v87, s5, v90
	v_add_f16_e32 v90, v90, v91
	v_fma_f16 v91, v88, s5, -v156
	v_add_f16_e32 v91, v91, v93
	v_mul_f16_e32 v93, 0x3482, v86
	v_fma_f16 v157, v88, s5, v156
	v_fma_f16 v156, v87, s16, -v93
	v_add_f16_e32 v104, v156, v104
	v_mul_f16_e32 v156, 0x3482, v89
	v_fma_f16 v93, v87, s16, v93
	v_add_f16_e32 v93, v93, v103
	v_fma_f16 v103, v88, s16, -v156
	v_add_f16_e32 v103, v103, v105
	v_mul_f16_e32 v105, 0x3b47, v86
	v_add_f16_e32 v99, v157, v99
	v_fma_f16 v157, v88, s16, v156
	v_fma_f16 v156, v87, s4, -v105
	v_add_f16_e32 v140, v156, v140
	v_mul_f16_e32 v156, 0x3b47, v89
	v_fma_f16 v105, v87, s4, v105
	v_add_f16_e32 v105, v105, v137
	v_fma_f16 v137, v88, s4, -v156
	v_add_f16_e32 v137, v137, v141
	v_mul_f16_e32 v141, 0xb853, v86
	v_add_f16_e32 v135, v157, v135
	v_fma_f16 v157, v88, s4, v156
	v_fma_f16 v156, v87, s14, -v141
	v_add_f16_e32 v146, v156, v146
	v_mul_f16_e32 v156, 0xb853, v89
	v_fma_f16 v141, v87, s14, v141
	v_add_f16_e32 v141, v141, v145
	v_fma_f16 v145, v88, s14, -v156
	v_mul_f16_e32 v86, 0xba0c, v86
	v_add_f16_e32 v145, v145, v151
	v_fma_f16 v151, v87, s15, -v86
	v_mul_f16_e32 v89, 0xba0c, v89
	v_fma_f16 v86, v87, s15, v86
	v_add_f16_e32 v84, v86, v84
	v_fma_f16 v86, v88, s15, -v89
	v_add_f16_e32 v87, v171, v85
	v_sub_f16_e32 v85, v171, v85
	v_add_f16_e32 v151, v151, v154
	v_fma_f16 v154, v88, s15, v89
	v_add_f16_e32 v54, v86, v54
	v_add_f16_e32 v86, v170, v176
	v_mul_f16_e32 v89, 0xba0c, v85
	v_add_f16_e32 v142, v157, v142
	v_fma_f16 v157, v88, s14, v156
	v_add_f16_e32 v154, v154, v155
	v_sub_f16_e32 v88, v170, v176
	v_fma_f16 v155, v86, s15, -v89
	v_add_f16_e32 v92, v155, v92
	v_mul_f16_e32 v155, 0xba0c, v88
	v_fma_f16 v89, v86, s15, v89
	v_add_f16_e32 v89, v89, v90
	v_fma_f16 v90, v87, s15, -v155
	v_add_f16_e32 v90, v90, v91
	v_mul_f16_e32 v91, 0x3beb, v85
	v_fma_f16 v156, v87, s15, v155
	v_fma_f16 v155, v86, s5, -v91
	v_add_f16_e32 v104, v155, v104
	v_mul_f16_e32 v155, 0x3beb, v88
	v_fma_f16 v91, v86, s5, v91
	v_add_f16_e32 v91, v91, v93
	v_fma_f16 v93, v87, s5, -v155
	v_add_f16_e32 v93, v93, v103
	v_mul_f16_e32 v103, 0xb853, v85
	v_add_f16_e32 v99, v156, v99
	v_fma_f16 v156, v87, s5, v155
	v_fma_f16 v155, v86, s14, -v103
	v_add_f16_e32 v140, v155, v140
	v_mul_f16_e32 v155, 0xb853, v88
	v_fma_f16 v103, v86, s14, v103
	v_add_f16_e32 v103, v103, v105
	v_fma_f16 v105, v87, s14, -v155
	v_add_f16_e32 v105, v105, v137
	v_mul_f16_e32 v137, 0xb482, v85
	v_add_f16_e32 v135, v156, v135
	v_fma_f16 v156, v87, s14, v155
	v_fma_f16 v155, v86, s16, -v137
	v_add_f16_e32 v146, v155, v146
	v_mul_f16_e32 v155, 0xb482, v88
	v_fma_f16 v137, v86, s16, v137
	v_add_f16_e32 v137, v137, v141
	v_fma_f16 v141, v87, s16, -v155
	v_mul_f16_e32 v85, 0x3b47, v85
	v_add_f16_e32 v153, v158, v153
	v_add_f16_e32 v141, v141, v145
	v_fma_f16 v145, v86, s4, -v85
	v_mul_f16_e32 v88, 0x3b47, v88
	v_add_f16_e32 v153, v157, v153
	v_add_f16_e32 v142, v156, v142
	v_fma_f16 v156, v87, s16, v155
	v_add_f16_e32 v145, v145, v151
	v_fma_f16 v151, v87, s4, v88
	v_fma_f16 v85, v86, s4, v85
	v_sub_f16_e32 v159, v173, v175
	v_add_f16_e32 v153, v156, v153
	v_add_f16_e32 v151, v151, v154
	;; [unrolled: 1-line block ×3, first 2 shown]
	v_fma_f16 v84, v87, s4, -v88
	v_add_f16_e32 v156, v172, v174
	v_mul_f16_e32 v87, 0x3853, v159
	v_add_f16_e32 v155, v84, v54
	v_mul_f16_e32 v54, 0xb482, v159
	v_fma_f16 v88, v156, s14, -v87
	v_fma_f16 v87, v156, s14, v87
	v_sub_f16_e32 v158, v172, v174
	v_fma_f16 v84, v156, s16, -v54
	v_fma_f16 v54, v156, s16, v54
	v_add_f16_e32 v87, v87, v91
	v_mul_f16_e32 v91, 0xba0c, v159
	v_add_f16_e32 v157, v173, v175
	v_add_f16_e32 v85, v84, v92
	v_mul_f16_e32 v84, 0xb482, v158
	v_add_f16_e32 v54, v54, v89
	v_add_f16_e32 v89, v88, v104
	v_fma_f16 v92, v156, s15, -v91
	v_fma_f16 v91, v156, s15, v91
	v_mul_f16_e32 v104, 0x3b47, v159
	v_fma_f16 v86, v157, s16, v84
	v_fma_f16 v84, v157, s16, -v84
	v_mul_f16_e32 v88, 0x3853, v158
	v_add_f16_e32 v91, v91, v103
	v_fma_f16 v103, v156, s4, -v104
	v_add_f16_e32 v84, v84, v90
	v_fma_f16 v90, v157, s14, v88
	v_fma_f16 v88, v157, s14, -v88
	v_add_f16_e32 v103, v103, v146
	v_add_f16_sdwa v146, v55, v181 dst_sel:DWORD dst_unused:UNUSED_PAD src0_sel:WORD_1 src1_sel:DWORD
	v_add_f16_e32 v88, v88, v93
	v_add_f16_e32 v93, v92, v140
	v_mul_f16_e32 v92, 0xba0c, v158
	v_add_f16_e32 v146, v146, v183
	v_add_f16_e32 v86, v86, v99
	;; [unrolled: 1-line block ×3, first 2 shown]
	v_fma_f16 v99, v157, s15, v92
	v_fma_f16 v92, v157, s15, -v92
	v_mul_f16_e32 v135, 0x3b47, v158
	v_add_f16_e32 v146, v146, v185
	v_add_f16_e32 v92, v92, v105
	v_fma_f16 v105, v157, s4, v135
	v_fma_f16 v135, v157, s4, -v135
	v_add_f16_e32 v146, v146, v148
	v_add_f16_e32 v99, v99, v142
	v_fma_f16 v104, v156, s4, v104
	v_add_f16_e32 v135, v135, v141
	v_mul_f16_e32 v141, 0xbbeb, v159
	v_mul_f16_e32 v142, 0xbbeb, v158
	v_add_f16_e32 v146, v146, v139
	v_add_f16_e32 v53, v53, v166
	;; [unrolled: 1-line block ×3, first 2 shown]
	v_fma_f16 v137, v156, s5, -v141
	v_fma_f16 v140, v157, s5, v142
	v_fma_f16 v141, v156, s5, v141
	v_fma_f16 v142, v157, s5, -v142
	v_add_f16_e32 v146, v146, v144
	v_add_f16_e32 v53, v53, v168
	;; [unrolled: 1-line block ×5, first 2 shown]
	v_sub_f16_e32 v154, v180, v189
	v_sub_f16_e32 v155, v181, v190
	v_add_f16_e32 v53, v53, v170
	v_add_f16_e32 v105, v105, v153
	;; [unrolled: 1-line block ×6, first 2 shown]
	v_mul_f16_e32 v156, 0xb853, v155
	v_mul_f16_e32 v158, 0xb853, v154
	;; [unrolled: 1-line block ×10, first 2 shown]
	v_add_f16_e32 v53, v53, v172
	v_add_f16_e32 v146, v146, v152
	v_fma_f16 v157, v151, s14, -v156
	v_fma_f16 v159, v153, s14, v158
	v_fma_f16 v156, v151, s14, v156
	v_fma_f16 v158, v153, s14, -v158
	v_fma_f16 v161, v151, s4, -v160
	v_fma_f16 v163, v153, s4, v162
	v_fma_f16 v160, v151, s4, v160
	v_fma_f16 v162, v153, s4, -v162
	;; [unrolled: 4-line block ×5, first 2 shown]
	v_add_f16_e32 v154, v183, v152
	v_sub_f16_e32 v152, v183, v152
	v_add_f16_e32 v53, v53, v174
	v_add_f16_e32 v137, v137, v145
	;; [unrolled: 1-line block ×4, first 2 shown]
	v_add_f16_sdwa v159, v55, v159 dst_sel:DWORD dst_unused:UNUSED_PAD src0_sel:WORD_1 src1_sel:DWORD
	v_add_f16_e32 v156, v55, v156
	v_add_f16_sdwa v158, v55, v158 dst_sel:DWORD dst_unused:UNUSED_PAD src0_sel:WORD_1 src1_sel:DWORD
	v_add_f16_e32 v161, v55, v161
	;; [unrolled: 2-line block ×10, first 2 shown]
	v_mul_f16_e32 v174, 0xbb47, v152
	v_sub_f16_e32 v155, v182, v188
	v_fma_f16 v175, v153, s4, -v174
	v_add_f16_e32 v157, v175, v157
	v_mul_f16_e32 v175, 0xbb47, v155
	v_fma_f16 v174, v153, s4, v174
	v_add_f16_e32 v156, v174, v156
	v_fma_f16 v174, v154, s4, -v175
	v_add_f16_e32 v158, v174, v158
	v_mul_f16_e32 v174, 0xba0c, v152
	v_add_f16_e32 v53, v53, v176
	v_fma_f16 v176, v154, s4, v175
	v_fma_f16 v175, v153, s15, -v174
	v_add_f16_e32 v161, v175, v161
	v_mul_f16_e32 v175, 0xba0c, v155
	v_fma_f16 v174, v153, s15, v174
	v_add_f16_e32 v160, v174, v160
	v_fma_f16 v174, v154, s15, -v175
	v_add_f16_e32 v162, v174, v162
	v_mul_f16_e32 v174, 0x3482, v152
	v_add_f16_e32 v159, v176, v159
	v_fma_f16 v176, v154, s15, v175
	;; [unrolled: 10-line block ×3, first 2 shown]
	v_fma_f16 v175, v153, s5, -v174
	v_add_f16_e32 v169, v175, v169
	v_mul_f16_e32 v175, 0x3beb, v155
	v_fma_f16 v174, v153, s5, v174
	v_add_f16_e32 v168, v174, v168
	v_fma_f16 v174, v154, s5, -v175
	v_mul_f16_e32 v152, 0x3853, v152
	v_add_f16_e32 v170, v174, v170
	v_fma_f16 v174, v153, s14, -v152
	v_mul_f16_e32 v155, 0x3853, v155
	v_fma_f16 v152, v153, s14, v152
	v_add_f16_e32 v172, v174, v172
	v_fma_f16 v174, v154, s14, v155
	v_add_f16_e32 v151, v152, v151
	v_fma_f16 v152, v154, s14, -v155
	v_sub_f16_e32 v155, v185, v187
	v_add_f16_e32 v173, v174, v173
	v_add_f16_e32 v55, v152, v55
	;; [unrolled: 1-line block ×3, first 2 shown]
	v_mul_f16_e32 v174, 0xbbeb, v155
	v_add_f16_e32 v167, v176, v167
	v_fma_f16 v176, v154, s5, v175
	v_sub_f16_e32 v154, v184, v186
	v_fma_f16 v175, v152, s5, -v174
	v_add_f16_e32 v153, v185, v187
	v_add_f16_e32 v157, v175, v157
	v_mul_f16_e32 v175, 0xbbeb, v154
	v_fma_f16 v174, v152, s5, v174
	v_add_f16_e32 v156, v174, v156
	v_fma_f16 v174, v153, s5, -v175
	v_add_f16_e32 v158, v174, v158
	v_mul_f16_e32 v174, 0x3482, v155
	v_add_f16_e32 v171, v176, v171
	v_fma_f16 v176, v153, s5, v175
	v_fma_f16 v175, v152, s16, -v174
	v_add_f16_e32 v161, v175, v161
	v_mul_f16_e32 v175, 0x3482, v154
	v_fma_f16 v174, v152, s16, v174
	v_add_f16_e32 v160, v174, v160
	v_fma_f16 v174, v153, s16, -v175
	v_add_f16_e32 v162, v174, v162
	v_mul_f16_e32 v174, 0x3b47, v155
	v_add_f16_e32 v159, v176, v159
	v_fma_f16 v176, v153, s16, v175
	v_fma_f16 v175, v152, s4, -v174
	v_add_f16_e32 v165, v175, v165
	v_mul_f16_e32 v175, 0x3b47, v154
	v_fma_f16 v174, v152, s4, v174
	v_add_f16_e32 v164, v174, v164
	v_fma_f16 v174, v153, s4, -v175
	v_add_f16_e32 v166, v174, v166
	v_mul_f16_e32 v174, 0xb853, v155
	v_add_f16_e32 v145, v145, v182
	v_add_f16_e32 v163, v176, v163
	v_fma_f16 v176, v153, s4, v175
	v_fma_f16 v175, v152, s14, -v174
	v_add_f16_e32 v145, v145, v184
	v_add_f16_e32 v169, v175, v169
	v_mul_f16_e32 v175, 0xb853, v154
	v_fma_f16 v174, v152, s14, v174
	v_add_f16_e32 v145, v145, v147
	v_add_f16_e32 v168, v174, v168
	v_fma_f16 v174, v153, s14, -v175
	v_mul_f16_e32 v155, 0xba0c, v155
	v_add_f16_e32 v145, v145, v138
	v_add_f16_e32 v170, v174, v170
	v_fma_f16 v174, v152, s15, -v155
	v_mul_f16_e32 v154, 0xba0c, v154
	v_fma_f16 v152, v152, s15, v155
	v_add_f16_e32 v145, v145, v143
	v_add_f16_e32 v167, v176, v167
	v_fma_f16 v176, v153, s14, v175
	v_add_f16_e32 v172, v174, v172
	v_fma_f16 v174, v153, s15, v154
	v_add_f16_e32 v151, v152, v151
	v_fma_f16 v152, v153, s15, -v154
	v_add_f16_e32 v153, v148, v150
	v_sub_f16_e32 v148, v148, v150
	v_add_f16_e32 v145, v145, v149
	v_add_f16_e32 v55, v152, v55
	;; [unrolled: 1-line block ×3, first 2 shown]
	v_sub_f16_e32 v147, v147, v149
	v_mul_f16_e32 v149, 0xba0c, v148
	v_fma_f16 v150, v152, s15, -v149
	v_fma_f16 v149, v152, s15, v149
	v_mul_f16_e32 v154, 0xba0c, v147
	v_add_f16_e32 v149, v149, v156
	v_mul_f16_e32 v156, 0x3beb, v148
	v_add_f16_e32 v150, v150, v157
	v_fma_f16 v155, v153, s15, v154
	v_fma_f16 v154, v153, s15, -v154
	v_fma_f16 v157, v152, s5, -v156
	v_fma_f16 v156, v152, s5, v156
	v_add_f16_e32 v154, v154, v158
	v_mul_f16_e32 v158, 0x3beb, v147
	v_add_f16_e32 v156, v156, v160
	v_mul_f16_e32 v160, 0xb853, v148
	v_add_f16_e32 v155, v155, v159
	v_add_f16_e32 v157, v157, v161
	v_fma_f16 v159, v153, s5, v158
	v_fma_f16 v158, v153, s5, -v158
	v_fma_f16 v161, v152, s14, -v160
	v_fma_f16 v160, v152, s14, v160
	v_add_f16_e32 v158, v158, v162
	v_mul_f16_e32 v162, 0xb853, v147
	v_add_f16_e32 v160, v160, v164
	v_mul_f16_e32 v164, 0xb482, v148
	v_add_f16_e32 v159, v159, v163
	v_add_f16_e32 v161, v161, v165
	v_fma_f16 v163, v153, s14, v162
	v_fma_f16 v162, v153, s14, -v162
	v_fma_f16 v165, v152, s16, -v164
	v_fma_f16 v164, v152, s16, v164
	v_mul_f16_e32 v148, 0x3b47, v148
	v_add_f16_e32 v162, v162, v166
	v_mul_f16_e32 v166, 0xb482, v147
	v_add_f16_e32 v164, v164, v168
	v_fma_f16 v168, v152, s4, -v148
	v_mul_f16_e32 v147, 0x3b47, v147
	v_fma_f16 v148, v152, s4, v148
	v_add_f16_e32 v165, v165, v169
	v_fma_f16 v169, v153, s4, v147
	v_add_f16_e32 v148, v148, v151
	v_fma_f16 v147, v153, s4, -v147
	v_add_f16_e32 v151, v139, v144
	v_sub_f16_e32 v139, v139, v144
	v_add_f16_e32 v55, v147, v55
	v_add_f16_e32 v147, v138, v143
	v_sub_f16_e32 v138, v138, v143
	v_mul_f16_e32 v143, 0xb482, v139
	v_fma_f16 v144, v147, s16, -v143
	v_add_f16_e32 v144, v144, v150
	v_mul_f16_e32 v150, 0xb482, v138
	v_fma_f16 v143, v147, s16, v143
	v_fma_f16 v152, v151, s16, v150
	v_add_f16_e32 v143, v143, v149
	v_fma_f16 v149, v151, s16, -v150
	v_mul_f16_e32 v150, 0x3853, v139
	v_add_f16_e32 v163, v163, v167
	v_fma_f16 v167, v153, s16, v166
	v_fma_f16 v166, v153, s16, -v166
	v_add_f16_e32 v149, v149, v154
	v_fma_f16 v153, v147, s14, -v150
	v_mul_f16_e32 v154, 0x3853, v138
	v_fma_f16 v150, v147, s14, v150
	v_add_f16_e32 v152, v152, v155
	v_fma_f16 v155, v151, s14, v154
	v_add_f16_e32 v150, v150, v156
	v_fma_f16 v154, v151, s14, -v154
	v_mul_f16_e32 v156, 0xba0c, v139
	v_add_f16_e32 v153, v153, v157
	v_add_f16_e32 v154, v154, v158
	v_fma_f16 v157, v147, s15, -v156
	v_mul_f16_e32 v158, 0xba0c, v138
	v_fma_f16 v156, v147, s15, v156
	v_add_f16_e32 v155, v155, v159
	v_fma_f16 v159, v151, s15, v158
	v_add_f16_e32 v156, v156, v160
	v_fma_f16 v158, v151, s15, -v158
	v_mul_f16_e32 v160, 0x3b47, v139
	v_add_f16_e32 v157, v157, v161
	v_add_f16_e32 v158, v158, v162
	v_fma_f16 v161, v147, s4, -v160
	v_mul_f16_e32 v162, 0x3b47, v138
	v_mul_f16_e32 v138, 0xbbeb, v138
	v_add_f16_e32 v161, v161, v165
	v_fma_f16 v165, v151, s5, v138
	v_fma_f16 v138, v151, s5, -v138
	v_fma_f16 v160, v147, s4, v160
	v_mul_f16_e32 v139, 0xbbeb, v139
	v_add_f16_e32 v55, v138, v55
	v_add_f16_e32 v138, v52, v82
	;; [unrolled: 1-line block ×3, first 2 shown]
	v_fma_f16 v164, v147, s5, -v139
	v_fma_f16 v139, v147, s5, v139
	v_add_f16_sdwa v147, v52, v83 dst_sel:DWORD dst_unused:UNUSED_PAD src0_sel:WORD_1 src1_sel:DWORD
	v_add_f16_e32 v138, v138, v78
	v_add_f16_e32 v147, v147, v79
	;; [unrolled: 1-line block ×19, first 2 shown]
	v_fma_f16 v163, v151, s4, v162
	v_fma_f16 v162, v151, s4, -v162
	v_add_f16_e32 v139, v139, v148
	v_add_f16_e32 v147, v147, v77
	;; [unrolled: 1-line block ×5, first 2 shown]
	v_sub_f16_e32 v82, v82, v101
	v_sub_f16_e32 v83, v83, v102
	v_add_f16_e32 v53, v53, v178
	v_add_f16_e32 v167, v167, v171
	;; [unrolled: 1-line block ×7, first 2 shown]
	v_mul_f16_e32 v101, 0xb853, v83
	v_mul_f16_e32 v166, 0xb853, v82
	;; [unrolled: 1-line block ×10, first 2 shown]
	v_add_f16_e32 v53, v53, v179
	v_add_f16_e32 v163, v163, v167
	;; [unrolled: 1-line block ×4, first 2 shown]
	v_fma_f16 v102, v148, s14, -v101
	v_fma_f16 v167, v151, s14, v166
	v_fma_f16 v101, v148, s14, v101
	v_fma_f16 v166, v151, s14, -v166
	v_fma_f16 v169, v148, s4, -v168
	v_fma_f16 v171, v151, s4, v170
	v_fma_f16 v168, v148, s4, v168
	v_fma_f16 v170, v151, s4, -v170
	;; [unrolled: 4-line block ×5, first 2 shown]
	v_add_f16_e32 v148, v79, v81
	v_sub_f16_e32 v79, v79, v81
	v_add_f16_e32 v102, v52, v102
	v_add_f16_sdwa v167, v52, v167 dst_sel:DWORD dst_unused:UNUSED_PAD src0_sel:WORD_1 src1_sel:DWORD
	v_add_f16_e32 v101, v52, v101
	v_add_f16_sdwa v166, v52, v166 dst_sel:DWORD dst_unused:UNUSED_PAD src0_sel:WORD_1 src1_sel:DWORD
	;; [unrolled: 2-line block ×10, first 2 shown]
	v_add_f16_e32 v82, v78, v80
	v_sub_f16_e32 v78, v78, v80
	v_mul_f16_e32 v80, 0xbb47, v79
	v_fma_f16 v81, v82, s4, -v80
	v_add_f16_e32 v81, v81, v102
	v_mul_f16_e32 v102, 0xbb47, v78
	v_fma_f16 v80, v82, s4, v80
	v_fma_f16 v151, v148, s4, v102
	v_add_f16_e32 v80, v80, v101
	v_fma_f16 v101, v148, s4, -v102
	v_mul_f16_e32 v102, 0xba0c, v79
	v_add_f16_e32 v151, v151, v167
	v_add_f16_e32 v101, v101, v166
	v_fma_f16 v166, v82, s15, -v102
	v_mul_f16_e32 v167, 0xba0c, v78
	v_fma_f16 v102, v82, s15, v102
	v_add_f16_e32 v166, v166, v169
	v_fma_f16 v169, v148, s15, v167
	v_add_f16_e32 v102, v102, v168
	v_fma_f16 v167, v148, s15, -v167
	v_mul_f16_e32 v168, 0x3482, v79
	v_add_f16_e32 v169, v169, v171
	v_add_f16_e32 v167, v167, v170
	v_fma_f16 v170, v82, s16, -v168
	v_mul_f16_e32 v171, 0x3482, v78
	v_fma_f16 v168, v82, s16, v168
	v_add_f16_e32 v170, v170, v173
	v_fma_f16 v173, v148, s16, v171
	v_add_f16_e32 v168, v168, v172
	v_fma_f16 v171, v148, s16, -v171
	v_mul_f16_e32 v172, 0x3beb, v79
	v_add_f16_e32 v173, v173, v175
	v_add_f16_e32 v171, v171, v174
	v_fma_f16 v174, v82, s5, -v172
	v_mul_f16_e32 v175, 0x3beb, v78
	v_add_f16_e32 v174, v174, v177
	v_fma_f16 v177, v148, s5, v175
	v_fma_f16 v172, v82, s5, v172
	v_fma_f16 v175, v148, s5, -v175
	v_mul_f16_e32 v79, 0x3853, v79
	v_mul_f16_e32 v78, 0x3853, v78
	v_add_f16_e32 v172, v172, v176
	v_add_f16_e32 v175, v175, v178
	v_fma_f16 v176, v82, s14, -v79
	v_fma_f16 v178, v148, s14, v78
	v_fma_f16 v79, v82, s14, v79
	v_fma_f16 v78, v148, s14, -v78
	v_add_f16_e32 v82, v75, v77
	v_sub_f16_e32 v75, v75, v77
	v_add_f16_e32 v52, v78, v52
	v_add_f16_e32 v78, v74, v76
	v_sub_f16_e32 v74, v74, v76
	v_mul_f16_e32 v76, 0xbbeb, v75
	v_fma_f16 v77, v78, s5, -v76
	v_add_f16_e32 v77, v77, v81
	v_mul_f16_e32 v81, 0xbbeb, v74
	v_fma_f16 v76, v78, s5, v76
	v_add_f16_e32 v79, v79, v83
	v_fma_f16 v83, v82, s5, v81
	v_add_f16_e32 v76, v76, v80
	v_fma_f16 v80, v82, s5, -v81
	v_mul_f16_e32 v81, 0x3482, v75
	v_add_f16_e32 v80, v80, v101
	v_fma_f16 v101, v78, s16, -v81
	v_mul_f16_e32 v148, 0x3482, v74
	v_fma_f16 v81, v78, s16, v81
	v_add_f16_e32 v83, v83, v151
	v_fma_f16 v151, v82, s16, v148
	v_add_f16_e32 v81, v81, v102
	v_fma_f16 v102, v82, s16, -v148
	v_mul_f16_e32 v148, 0x3b47, v75
	v_add_f16_e32 v101, v101, v166
	v_add_f16_e32 v102, v102, v167
	v_fma_f16 v166, v78, s4, -v148
	v_mul_f16_e32 v167, 0x3b47, v74
	v_fma_f16 v148, v78, s4, v148
	v_add_f16_e32 v151, v151, v169
	v_fma_f16 v169, v82, s4, v167
	v_add_f16_e32 v148, v148, v168
	v_fma_f16 v167, v82, s4, -v167
	v_mul_f16_e32 v168, 0xb853, v75
	v_add_f16_e32 v166, v166, v170
	v_add_f16_e32 v167, v167, v171
	v_fma_f16 v170, v78, s14, -v168
	v_mul_f16_e32 v171, 0xb853, v74
	v_fma_f16 v168, v78, s14, v168
	v_mul_f16_e32 v75, 0xba0c, v75
	v_mul_f16_e32 v74, 0xba0c, v74
	v_add_f16_e32 v170, v170, v174
	v_add_f16_e32 v168, v168, v172
	v_fma_f16 v172, v78, s15, -v75
	v_fma_f16 v174, v82, s15, v74
	v_fma_f16 v75, v78, s15, v75
	v_fma_f16 v74, v82, s15, -v74
	v_add_f16_e32 v78, v69, v73
	v_sub_f16_e32 v69, v69, v73
	v_add_f16_e32 v52, v74, v52
	v_add_f16_e32 v74, v67, v71
	v_sub_f16_e32 v67, v67, v71
	v_mul_f16_e32 v71, 0xba0c, v69
	v_fma_f16 v73, v74, s15, -v71
	v_add_f16_e32 v73, v73, v77
	v_mul_f16_e32 v77, 0xba0c, v67
	v_fma_f16 v71, v74, s15, v71
	v_add_f16_e32 v75, v75, v79
	v_fma_f16 v79, v78, s15, v77
	v_add_f16_e32 v71, v71, v76
	v_fma_f16 v76, v78, s15, -v77
	v_mul_f16_e32 v77, 0x3beb, v69
	v_add_f16_e32 v169, v169, v173
	v_fma_f16 v173, v82, s14, v171
	v_fma_f16 v171, v82, s14, -v171
	v_add_f16_e32 v76, v76, v80
	v_fma_f16 v80, v74, s5, -v77
	v_mul_f16_e32 v82, 0x3beb, v67
	v_fma_f16 v77, v74, s5, v77
	v_add_f16_e32 v79, v79, v83
	v_fma_f16 v83, v78, s5, v82
	v_add_f16_e32 v77, v77, v81
	v_fma_f16 v81, v78, s5, -v82
	v_mul_f16_e32 v82, 0xb853, v69
	v_add_f16_e32 v80, v80, v101
	v_add_f16_e32 v81, v81, v102
	v_fma_f16 v101, v74, s14, -v82
	v_mul_f16_e32 v102, 0xb853, v67
	v_fma_f16 v82, v74, s14, v82
	v_add_f16_e32 v83, v83, v151
	v_fma_f16 v151, v78, s14, v102
	v_add_f16_e32 v82, v82, v148
	v_fma_f16 v102, v78, s14, -v102
	v_mul_f16_e32 v148, 0xb482, v69
	v_add_f16_e32 v101, v101, v166
	v_add_f16_e32 v102, v102, v167
	v_fma_f16 v166, v74, s16, -v148
	v_mul_f16_e32 v167, 0xb482, v67
	v_fma_f16 v148, v74, s16, v148
	v_mul_f16_e32 v69, 0x3b47, v69
	v_mul_f16_e32 v67, 0x3b47, v67
	v_pack_b32_f16 v53, v53, v57
	v_pack_b32_f16 v57, v85, v86
	v_add_f16_e32 v166, v166, v170
	v_add_f16_e32 v148, v148, v168
	v_fma_f16 v168, v74, s4, -v69
	v_fma_f16 v170, v78, s4, v67
	v_fma_f16 v69, v74, s4, v69
	v_fma_f16 v67, v78, s4, -v67
	v_add_f16_e32 v74, v61, v65
	v_sub_f16_e32 v61, v61, v65
	s_waitcnt lgkmcnt(0)
	; wave barrier
	ds_write2_b32 v16, v53, v57 offset1:51
	v_pack_b32_f16 v53, v89, v90
	v_pack_b32_f16 v57, v93, v99
	v_add_f16_e32 v145, v145, v186
	v_add_f16_e32 v52, v67, v52
	v_add_f16_e32 v67, v59, v63
	v_sub_f16_e32 v59, v59, v63
	v_mul_f16_e32 v63, 0xb482, v61
	ds_write2_b32 v16, v53, v57 offset0:102 offset1:153
	v_pack_b32_f16 v53, v103, v105
	v_pack_b32_f16 v57, v137, v140
	v_add_f16_e32 v145, v145, v188
	v_fma_f16 v65, v67, s16, -v63
	ds_write2_b32 v16, v53, v57 offset0:204 offset1:255
	v_pack_b32_f16 v53, v141, v142
	v_pack_b32_f16 v57, v104, v135
	v_add_f16_e32 v145, v145, v189
	v_add_f16_e32 v146, v146, v190
	;; [unrolled: 1-line block ×3, first 2 shown]
	v_mul_f16_e32 v73, 0xb482, v59
	v_fma_f16 v63, v67, s16, v63
	ds_write2_b32 v97, v53, v57 offset0:50 offset1:101
	v_pack_b32_f16 v53, v91, v92
	v_pack_b32_f16 v57, v87, v88
	v_add_f16_e32 v69, v69, v75
	v_fma_f16 v75, v74, s16, v73
	v_add_f16_e32 v63, v63, v71
	v_fma_f16 v71, v74, s16, -v73
	v_mul_f16_e32 v73, 0x3853, v61
	ds_write2_b32 v97, v53, v57 offset0:152 offset1:203
	v_pack_b32_f16 v53, v54, v84
	v_pack_b32_f16 v54, v145, v146
	v_add_f16_e32 v151, v151, v169
	v_fma_f16 v169, v78, s16, v167
	v_fma_f16 v167, v78, s16, -v167
	v_add_f16_e32 v71, v71, v76
	v_fma_f16 v76, v67, s14, -v73
	v_mul_f16_e32 v78, 0x3853, v59
	v_fma_f16 v73, v67, s14, v73
	ds_write2_b32 v95, v53, v54 offset0:126 offset1:177
	v_pack_b32_f16 v53, v144, v152
	v_pack_b32_f16 v54, v153, v155
	v_add_f16_e32 v75, v75, v79
	v_fma_f16 v79, v74, s14, v78
	v_add_f16_e32 v73, v73, v77
	v_fma_f16 v77, v74, s14, -v78
	v_mul_f16_e32 v78, 0xba0c, v61
	ds_write2_b32 v25, v53, v54 offset0:100 offset1:151
	v_pack_b32_f16 v53, v157, v159
	v_pack_b32_f16 v54, v161, v163
	v_add_f16_e32 v76, v76, v80
	v_add_f16_e32 v77, v77, v81
	v_fma_f16 v80, v67, s15, -v78
	v_mul_f16_e32 v81, 0xba0c, v59
	v_fma_f16 v78, v67, s15, v78
	ds_write2_b32 v25, v53, v54 offset0:202 offset1:253
	v_pack_b32_f16 v53, v164, v165
	v_pack_b32_f16 v54, v139, v55
	v_add_f16_e32 v177, v177, v179
	v_add_f16_e32 v176, v176, v180
	v_add_f16_e32 v178, v178, v181
	v_add_f16_e32 v79, v79, v83
	v_fma_f16 v83, v74, s15, v81
	v_add_f16_e32 v78, v78, v82
	v_fma_f16 v81, v74, s15, -v81
	v_mul_f16_e32 v82, 0x3b47, v61
	ds_write2_b32 v96, v53, v54 offset0:48 offset1:99
	v_pack_b32_f16 v53, v160, v162
	v_pack_b32_f16 v54, v156, v158
	v_add_f16_e32 v173, v173, v177
	v_add_f16_e32 v172, v172, v176
	;; [unrolled: 1-line block ×5, first 2 shown]
	v_fma_f16 v101, v67, s4, -v82
	v_mul_f16_e32 v102, 0x3b47, v59
	v_fma_f16 v82, v67, s4, v82
	v_mul_f16_e32 v61, 0xbbeb, v61
	v_mul_f16_e32 v59, 0xbbeb, v59
	ds_write2_b32 v96, v53, v54 offset0:150 offset1:201
	v_pack_b32_f16 v53, v150, v154
	v_pack_b32_f16 v54, v143, v149
	v_lshlrev_b32_e32 v135, 2, v19
	v_add_f16_e32 v171, v171, v175
	v_add_f16_e32 v169, v169, v173
	;; [unrolled: 1-line block ×6, first 2 shown]
	v_fma_f16 v151, v74, s4, v102
	v_add_f16_e32 v82, v82, v148
	v_fma_f16 v148, v67, s5, -v61
	v_fma_f16 v166, v74, s5, v59
	ds_write2_b32 v100, v53, v54 offset0:124 offset1:175
	v_pack_b32_f16 v19, v138, v147
	v_pack_b32_f16 v53, v65, v75
	v_add_u32_e32 v54, 0x1000, v135
	v_add_f16_e32 v167, v167, v171
	v_add_f16_e32 v151, v151, v169
	v_fma_f16 v102, v74, s4, -v102
	v_add_f16_e32 v148, v148, v168
	v_add_f16_e32 v166, v166, v170
	v_fma_f16 v61, v67, s5, v61
	v_fma_f16 v59, v74, s5, -v59
	ds_write2_b32 v54, v19, v53 offset0:98 offset1:149
	v_pack_b32_f16 v19, v76, v79
	v_pack_b32_f16 v53, v80, v83
	v_add_f16_e32 v102, v102, v167
	v_add_f16_e32 v61, v61, v69
	;; [unrolled: 1-line block ×3, first 2 shown]
	ds_write2_b32 v54, v19, v53 offset0:200 offset1:251
	v_pack_b32_f16 v19, v101, v151
	v_pack_b32_f16 v53, v148, v166
	v_add_u32_e32 v54, 0x1400, v135
	ds_write2_b32 v54, v19, v53 offset0:46 offset1:97
	v_pack_b32_f16 v19, v61, v52
	v_pack_b32_f16 v52, v82, v102
	ds_write2_b32 v54, v19, v52 offset0:148 offset1:199
	v_pack_b32_f16 v19, v78, v81
	v_pack_b32_f16 v52, v73, v77
	v_add_u32_e32 v53, 0x1600, v135
	ds_write2_b32 v53, v19, v52 offset0:122 offset1:173
	v_pack_b32_f16 v19, v63, v71
	ds_write_b32 v135, v19 offset:6528
	v_lshlrev_b32_e32 v19, 3, v18
	s_waitcnt lgkmcnt(0)
	; wave barrier
	s_waitcnt lgkmcnt(0)
	global_load_dwordx2 v[52:53], v19, s[0:1] offset:2176
	v_lshlrev_b32_e32 v19, 3, v24
	global_load_dwordx2 v[54:55], v19, s[0:1] offset:2176
	v_lshlrev_b32_e32 v19, 3, v56
	ds_read2_b32 v[74:75], v16 offset1:51
	ds_read2_b32 v[88:89], v95 offset0:126 offset1:177
	ds_read2_b32 v[76:77], v94 offset0:98 offset1:149
	global_load_dwordx2 v[56:57], v19, s[0:1] offset:2176
	ds_read2_b32 v[80:81], v25 offset0:100 offset1:151
	global_load_dwordx2 v[58:59], v58, s[0:1] offset:2176
	s_waitcnt lgkmcnt(2)
	v_lshrrev_b32_e32 v99, 16, v89
	global_load_dwordx2 v[60:61], v60, s[0:1] offset:2176
	s_waitcnt lgkmcnt(1)
	v_lshrrev_b32_e32 v101, 16, v76
	;; [unrolled: 3-line block ×3, first 2 shown]
	global_load_dwordx2 v[64:65], v64, s[0:1] offset:2176
	ds_read2_b32 v[86:87], v94 offset0:200 offset1:251
	global_load_dwordx2 v[66:67], v66, s[0:1] offset:2176
	v_lshrrev_b32_e32 v147, 16, v77
	global_load_dwordx2 v[68:69], v68, s[0:1] offset:2176
	ds_read2_b32 v[90:91], v25 offset0:202 offset1:253
	global_load_dwordx2 v[70:71], v70, s[0:1] offset:2176
	v_lshrrev_b32_e32 v149, 16, v81
	global_load_dwordx2 v[72:73], v72, s[0:1] offset:2176
	s_waitcnt lgkmcnt(1)
	v_lshrrev_b32_e32 v150, 16, v86
	s_waitcnt lgkmcnt(0)
	v_lshrrev_b32_e32 v152, 16, v90
	ds_read2_b32 v[102:103], v136 offset0:46 offset1:97
	v_lshrrev_b32_e32 v153, 16, v87
	ds_read2_b32 v[104:105], v96 offset0:48 offset1:99
	;; [unrolled: 2-line block ×3, first 2 shown]
	s_waitcnt lgkmcnt(2)
	v_lshrrev_b32_e32 v156, 16, v102
	v_lshrrev_b32_e32 v159, 16, v103
	s_waitcnt lgkmcnt(1)
	v_lshrrev_b32_e32 v158, 16, v104
	ds_read2_b32 v[140:141], v96 offset0:150 offset1:201
	v_lshrrev_b32_e32 v161, 16, v105
	s_waitcnt lgkmcnt(1)
	v_lshrrev_b32_e32 v162, 16, v138
	ds_read2_b32 v[142:143], v98 offset0:122 offset1:173
	v_lshrrev_b32_e32 v165, 16, v139
	s_waitcnt lgkmcnt(1)
	v_lshrrev_b32_e32 v164, 16, v140
	ds_read2_b32 v[144:145], v100 offset0:124 offset1:175
	v_lshrrev_b32_e32 v167, 16, v141
	s_waitcnt lgkmcnt(1)
	v_lshrrev_b32_e32 v168, 16, v142
	ds_read_b32 v170, v16 offset:6528
	v_lshrrev_b32_e32 v172, 16, v143
	s_waitcnt lgkmcnt(1)
	v_lshrrev_b32_e32 v171, 16, v144
	v_lshrrev_b32_e32 v174, 16, v145
	;; [unrolled: 1-line block ×3, first 2 shown]
	s_waitcnt lgkmcnt(0)
	v_lshrrev_b32_e32 v175, 16, v170
	ds_read2_b32 v[82:83], v16 offset0:102 offset1:153
	v_lshrrev_b32_e32 v137, 16, v75
	ds_read2_b32 v[92:93], v16 offset0:204 offset1:255
	ds_read2_b32 v[78:79], v97 offset0:50 offset1:101
	;; [unrolled: 1-line block ×3, first 2 shown]
	s_waitcnt lgkmcnt(3)
	v_lshrrev_b32_e32 v148, 16, v82
	v_lshrrev_b32_e32 v151, 16, v83
	s_waitcnt lgkmcnt(2)
	v_lshrrev_b32_e32 v154, 16, v92
	v_lshrrev_b32_e32 v157, 16, v93
	;; [unrolled: 3-line block ×4, first 2 shown]
	v_lshrrev_b32_e32 v173, 16, v88
	s_add_u32 s4, s12, 0x1a4c
	s_addc_u32 s5, s13, 0
	s_movk_i32 s0, 0x1000
	s_waitcnt vmcnt(10)
	v_mul_f16_sdwa v176, v99, v52 dst_sel:DWORD dst_unused:UNUSED_PAD src0_sel:DWORD src1_sel:WORD_1
	v_fma_f16 v176, v89, v52, -v176
	v_mul_f16_sdwa v89, v89, v52 dst_sel:DWORD dst_unused:UNUSED_PAD src0_sel:DWORD src1_sel:WORD_1
	v_fma_f16 v89, v99, v52, v89
	v_mul_f16_sdwa v99, v101, v53 dst_sel:DWORD dst_unused:UNUSED_PAD src0_sel:DWORD src1_sel:WORD_1
	v_fma_f16 v99, v76, v53, -v99
	v_mul_f16_sdwa v76, v76, v53 dst_sel:DWORD dst_unused:UNUSED_PAD src0_sel:DWORD src1_sel:WORD_1
	v_fma_f16 v76, v101, v53, v76
	s_waitcnt vmcnt(9)
	v_mul_f16_sdwa v101, v146, v54 dst_sel:DWORD dst_unused:UNUSED_PAD src0_sel:DWORD src1_sel:WORD_1
	v_fma_f16 v101, v80, v54, -v101
	v_mul_f16_sdwa v80, v80, v54 dst_sel:DWORD dst_unused:UNUSED_PAD src0_sel:DWORD src1_sel:WORD_1
	v_fma_f16 v80, v146, v54, v80
	v_mul_f16_sdwa v146, v147, v55 dst_sel:DWORD dst_unused:UNUSED_PAD src0_sel:DWORD src1_sel:WORD_1
	v_fma_f16 v146, v77, v55, -v146
	v_mul_f16_sdwa v77, v77, v55 dst_sel:DWORD dst_unused:UNUSED_PAD src0_sel:DWORD src1_sel:WORD_1
	v_fma_f16 v77, v147, v55, v77
	s_waitcnt vmcnt(8)
	v_mul_f16_sdwa v147, v149, v56 dst_sel:DWORD dst_unused:UNUSED_PAD src0_sel:DWORD src1_sel:WORD_1
	v_fma_f16 v147, v81, v56, -v147
	v_mul_f16_sdwa v81, v81, v56 dst_sel:DWORD dst_unused:UNUSED_PAD src0_sel:DWORD src1_sel:WORD_1
	v_fma_f16 v81, v149, v56, v81
	v_mul_f16_sdwa v149, v150, v57 dst_sel:DWORD dst_unused:UNUSED_PAD src0_sel:DWORD src1_sel:WORD_1
	v_fma_f16 v149, v86, v57, -v149
	v_mul_f16_sdwa v86, v86, v57 dst_sel:DWORD dst_unused:UNUSED_PAD src0_sel:DWORD src1_sel:WORD_1
	v_fma_f16 v86, v150, v57, v86
	s_waitcnt vmcnt(7)
	v_mul_f16_sdwa v150, v152, v58 dst_sel:DWORD dst_unused:UNUSED_PAD src0_sel:DWORD src1_sel:WORD_1
	v_fma_f16 v150, v90, v58, -v150
	v_mul_f16_sdwa v90, v90, v58 dst_sel:DWORD dst_unused:UNUSED_PAD src0_sel:DWORD src1_sel:WORD_1
	v_fma_f16 v90, v152, v58, v90
	v_mul_f16_sdwa v152, v153, v59 dst_sel:DWORD dst_unused:UNUSED_PAD src0_sel:DWORD src1_sel:WORD_1
	v_fma_f16 v152, v87, v59, -v152
	v_mul_f16_sdwa v87, v87, v59 dst_sel:DWORD dst_unused:UNUSED_PAD src0_sel:DWORD src1_sel:WORD_1
	v_fma_f16 v87, v153, v59, v87
	s_waitcnt vmcnt(6)
	v_mul_f16_sdwa v153, v155, v60 dst_sel:DWORD dst_unused:UNUSED_PAD src0_sel:DWORD src1_sel:WORD_1
	v_fma_f16 v153, v91, v60, -v153
	v_mul_f16_sdwa v91, v91, v60 dst_sel:DWORD dst_unused:UNUSED_PAD src0_sel:DWORD src1_sel:WORD_1
	v_fma_f16 v91, v155, v60, v91
	v_mul_f16_sdwa v155, v156, v61 dst_sel:DWORD dst_unused:UNUSED_PAD src0_sel:DWORD src1_sel:WORD_1
	v_fma_f16 v155, v102, v61, -v155
	v_mul_f16_sdwa v102, v102, v61 dst_sel:DWORD dst_unused:UNUSED_PAD src0_sel:DWORD src1_sel:WORD_1
	v_fma_f16 v102, v156, v61, v102
	s_waitcnt vmcnt(5)
	v_mul_f16_sdwa v156, v158, v62 dst_sel:DWORD dst_unused:UNUSED_PAD src0_sel:DWORD src1_sel:WORD_1
	v_fma_f16 v156, v104, v62, -v156
	v_mul_f16_sdwa v104, v104, v62 dst_sel:DWORD dst_unused:UNUSED_PAD src0_sel:DWORD src1_sel:WORD_1
	v_fma_f16 v104, v158, v62, v104
	v_mul_f16_sdwa v158, v159, v63 dst_sel:DWORD dst_unused:UNUSED_PAD src0_sel:DWORD src1_sel:WORD_1
	v_fma_f16 v158, v103, v63, -v158
	v_mul_f16_sdwa v103, v103, v63 dst_sel:DWORD dst_unused:UNUSED_PAD src0_sel:DWORD src1_sel:WORD_1
	v_fma_f16 v103, v159, v63, v103
	s_waitcnt vmcnt(4)
	v_mul_f16_sdwa v159, v161, v64 dst_sel:DWORD dst_unused:UNUSED_PAD src0_sel:DWORD src1_sel:WORD_1
	v_fma_f16 v159, v105, v64, -v159
	v_mul_f16_sdwa v105, v105, v64 dst_sel:DWORD dst_unused:UNUSED_PAD src0_sel:DWORD src1_sel:WORD_1
	v_fma_f16 v105, v161, v64, v105
	v_mul_f16_sdwa v161, v162, v65 dst_sel:DWORD dst_unused:UNUSED_PAD src0_sel:DWORD src1_sel:WORD_1
	v_fma_f16 v161, v138, v65, -v161
	v_mul_f16_sdwa v138, v138, v65 dst_sel:DWORD dst_unused:UNUSED_PAD src0_sel:DWORD src1_sel:WORD_1
	v_fma_f16 v138, v162, v65, v138
	s_waitcnt vmcnt(3)
	v_mul_f16_sdwa v162, v164, v66 dst_sel:DWORD dst_unused:UNUSED_PAD src0_sel:DWORD src1_sel:WORD_1
	v_fma_f16 v162, v140, v66, -v162
	v_mul_f16_sdwa v140, v140, v66 dst_sel:DWORD dst_unused:UNUSED_PAD src0_sel:DWORD src1_sel:WORD_1
	v_fma_f16 v164, v164, v66, v140
	v_mul_f16_sdwa v140, v165, v67 dst_sel:DWORD dst_unused:UNUSED_PAD src0_sel:DWORD src1_sel:WORD_1
	v_fma_f16 v177, v139, v67, -v140
	v_mul_f16_sdwa v139, v139, v67 dst_sel:DWORD dst_unused:UNUSED_PAD src0_sel:DWORD src1_sel:WORD_1
	v_fma_f16 v165, v165, v67, v139
	s_waitcnt vmcnt(2)
	v_mul_f16_sdwa v139, v167, v68 dst_sel:DWORD dst_unused:UNUSED_PAD src0_sel:DWORD src1_sel:WORD_1
	v_fma_f16 v178, v141, v68, -v139
	v_mul_f16_sdwa v139, v141, v68 dst_sel:DWORD dst_unused:UNUSED_PAD src0_sel:DWORD src1_sel:WORD_1
	v_fma_f16 v167, v167, v68, v139
	v_mul_f16_sdwa v139, v168, v69 dst_sel:DWORD dst_unused:UNUSED_PAD src0_sel:DWORD src1_sel:WORD_1
	v_fma_f16 v179, v142, v69, -v139
	v_mul_f16_sdwa v139, v142, v69 dst_sel:DWORD dst_unused:UNUSED_PAD src0_sel:DWORD src1_sel:WORD_1
	v_fma_f16 v168, v168, v69, v139
	s_waitcnt vmcnt(1)
	v_mul_f16_sdwa v139, v171, v70 dst_sel:DWORD dst_unused:UNUSED_PAD src0_sel:DWORD src1_sel:WORD_1
	v_fma_f16 v180, v144, v70, -v139
	v_mul_f16_sdwa v139, v144, v70 dst_sel:DWORD dst_unused:UNUSED_PAD src0_sel:DWORD src1_sel:WORD_1
	v_fma_f16 v171, v171, v70, v139
	v_mul_f16_sdwa v139, v172, v71 dst_sel:DWORD dst_unused:UNUSED_PAD src0_sel:DWORD src1_sel:WORD_1
	v_fma_f16 v181, v143, v71, -v139
	v_mul_f16_sdwa v139, v143, v71 dst_sel:DWORD dst_unused:UNUSED_PAD src0_sel:DWORD src1_sel:WORD_1
	v_fma_f16 v172, v172, v71, v139
	s_waitcnt vmcnt(0)
	v_mul_f16_sdwa v139, v174, v72 dst_sel:DWORD dst_unused:UNUSED_PAD src0_sel:DWORD src1_sel:WORD_1
	v_fma_f16 v182, v145, v72, -v139
	v_mul_f16_sdwa v139, v145, v72 dst_sel:DWORD dst_unused:UNUSED_PAD src0_sel:DWORD src1_sel:WORD_1
	v_fma_f16 v174, v174, v72, v139
	v_mul_f16_sdwa v139, v175, v73 dst_sel:DWORD dst_unused:UNUSED_PAD src0_sel:DWORD src1_sel:WORD_1
	v_fma_f16 v183, v170, v73, -v139
	v_mul_f16_sdwa v139, v170, v73 dst_sel:DWORD dst_unused:UNUSED_PAD src0_sel:DWORD src1_sel:WORD_1
	v_fma_f16 v170, v175, v73, v139
	v_add_f16_e32 v139, v74, v176
	v_add_f16_e32 v175, v139, v99
	v_add_f16_e32 v139, v176, v99
	v_fma_f16 v74, v139, -0.5, v74
	v_sub_f16_e32 v139, v89, v76
	v_fma_f16 v184, v139, s6, v74
	v_fma_f16 v185, v139, s7, v74
	v_add_f16_e32 v74, v19, v89
	v_add_f16_e32 v186, v74, v76
	v_add_f16_e32 v74, v89, v76
	v_fma_f16 v19, v74, -0.5, v19
	v_sub_f16_e32 v74, v176, v99
	v_fma_f16 v99, v74, s7, v19
	v_fma_f16 v176, v74, s6, v19
	;; [unrolled: 7-line block ×11, first 2 shown]
	v_add_f16_e32 v19, v157, v104
	v_add_f16_e32 v154, v19, v103
	;; [unrolled: 1-line block ×3, first 2 shown]
	v_fma_f16 v19, v19, -0.5, v157
	v_sub_f16_e32 v75, v156, v158
	v_add_f16_e32 v76, v159, v161
	v_fma_f16 v103, v75, s7, v19
	v_fma_f16 v19, v75, s6, v19
	v_add_f16_e32 v75, v78, v159
	v_fma_f16 v77, v76, -0.5, v78
	v_sub_f16_e32 v78, v105, v138
	v_fma_f16 v76, v78, s6, v77
	v_fma_f16 v77, v78, s7, v77
	v_add_f16_e32 v78, v160, v105
	v_add_f16_e32 v137, v78, v138
	v_add_f16_e32 v78, v105, v138
	v_fma_f16 v78, v78, -0.5, v160
	v_sub_f16_e32 v80, v159, v161
	v_fma_f16 v138, v80, s7, v78
	v_fma_f16 v139, v80, s6, v78
	v_add_f16_e32 v80, v162, v177
	v_fma_f16 v80, v80, -0.5, v79
	v_sub_f16_e32 v81, v164, v165
	v_add_f16_e32 v78, v79, v162
	v_fma_f16 v79, v81, s6, v80
	v_fma_f16 v80, v81, s7, v80
	v_add_f16_e32 v81, v163, v164
	v_add_f16_e32 v140, v81, v165
	;; [unrolled: 1-line block ×3, first 2 shown]
	v_fma_f16 v81, v81, -0.5, v163
	v_sub_f16_e32 v82, v162, v177
	v_fma_f16 v141, v82, s7, v81
	v_fma_f16 v142, v82, s6, v81
	v_add_f16_e32 v82, v178, v179
	v_add_f16_e32 v81, v84, v178
	v_fma_f16 v83, v82, -0.5, v84
	v_sub_f16_e32 v84, v167, v168
	v_fma_f16 v82, v84, s6, v83
	v_fma_f16 v83, v84, s7, v83
	v_add_f16_e32 v84, v166, v167
	v_add_f16_e32 v143, v84, v168
	;; [unrolled: 1-line block ×3, first 2 shown]
	v_fma_f16 v84, v84, -0.5, v166
	v_sub_f16_e32 v86, v178, v179
	v_fma_f16 v144, v86, s7, v84
	v_fma_f16 v145, v86, s6, v84
	v_add_f16_e32 v86, v180, v181
	v_fma_f16 v86, v86, -0.5, v85
	v_sub_f16_e32 v87, v171, v172
	v_add_f16_e32 v84, v85, v180
	v_fma_f16 v85, v87, s6, v86
	v_fma_f16 v86, v87, s7, v86
	v_add_f16_e32 v87, v169, v171
	v_add_f16_e32 v146, v87, v172
	v_add_f16_e32 v87, v171, v172
	v_fma_f16 v87, v87, -0.5, v169
	v_sub_f16_e32 v89, v180, v181
	v_fma_f16 v147, v89, s7, v87
	v_fma_f16 v148, v89, s6, v87
	v_add_f16_e32 v89, v182, v183
	v_fma_f16 v89, v89, -0.5, v88
	v_sub_f16_e32 v104, v174, v170
	v_add_f16_e32 v87, v88, v182
	v_fma_f16 v88, v104, s6, v89
	v_fma_f16 v89, v104, s7, v89
	v_add_f16_e32 v104, v173, v174
	v_add_f16_e32 v149, v104, v170
	;; [unrolled: 1-line block ×3, first 2 shown]
	v_fma_f16 v104, v104, -0.5, v173
	v_sub_f16_e32 v105, v182, v183
	v_fma_f16 v150, v105, s7, v104
	v_fma_f16 v151, v105, s6, v104
	v_pack_b32_f16 v104, v175, v186
	v_pack_b32_f16 v155, v187, v190
	v_pack_b32_f16 v105, v185, v176
	ds_write2_b32 v16, v104, v155 offset1:51
	v_pack_b32_f16 v104, v189, v191
	v_pack_b32_f16 v101, v188, v101
	ds_write2_b32 v94, v105, v104 offset0:98 offset1:149
	v_pack_b32_f16 v105, v193, v196
	v_pack_b32_f16 v104, v192, v195
	ds_write2_b32 v25, v101, v105 offset0:100 offset1:151
	;; [unrolled: 3-line block ×3, first 2 shown]
	v_pack_b32_f16 v90, v199, v90
	v_pack_b32_f16 v104, v200, v152
	;; [unrolled: 1-line block ×3, first 2 shown]
	ds_write2_b32 v94, v101, v104 offset0:200 offset1:251
	v_pack_b32_f16 v101, v202, v204
	ds_write2_b32 v25, v90, v91 offset0:202 offset1:253
	v_pack_b32_f16 v90, v203, v102
	v_pack_b32_f16 v91, v153, v154
	;; [unrolled: 1-line block ×3, first 2 shown]
	v_add_f16_e32 v75, v75, v161
	v_add_f16_e32 v78, v78, v177
	ds_write2_b32 v16, v101, v91 offset0:204 offset1:255
	v_pack_b32_f16 v91, v93, v103
	ds_write2_b32 v136, v90, v92 offset0:46 offset1:97
	v_pack_b32_f16 v92, v76, v138
	v_pack_b32_f16 v90, v75, v137
	ds_write2_b32 v96, v91, v92 offset0:48 offset1:99
	v_pack_b32_f16 v92, v78, v140
	;; [unrolled: 3-line block ×3, first 2 shown]
	v_add_f16_e32 v81, v81, v179
	v_add_f16_e32 v84, v84, v181
	v_pack_b32_f16 v90, v79, v141
	ds_write2_b32 v136, v91, v92 offset0:148 offset1:199
	v_pack_b32_f16 v92, v82, v144
	v_pack_b32_f16 v91, v81, v143
	ds_write2_b32 v96, v90, v92 offset0:150 offset1:201
	v_pack_b32_f16 v92, v84, v146
	v_add_f16_e32 v87, v87, v183
	v_pack_b32_f16 v90, v83, v145
	ds_write2_b32 v97, v91, v92 offset0:152 offset1:203
	v_pack_b32_f16 v92, v86, v148
	v_pack_b32_f16 v99, v184, v99
	ds_write2_b32 v98, v90, v92 offset0:122 offset1:173
	v_pack_b32_f16 v90, v87, v149
	;; [unrolled: 3-line block ×3, first 2 shown]
	ds_write2_b32 v100, v91, v90 offset0:124 offset1:175
	v_pack_b32_f16 v90, v89, v151
	ds_write_b32 v16, v90 offset:6528
	v_lshlrev_b32_e32 v90, 2, v18
	s_waitcnt lgkmcnt(0)
	; wave barrier
	s_waitcnt lgkmcnt(0)
	global_load_dword v99, v90, s[4:5]
	global_load_dword v101, v90, s[4:5] offset:396
	global_load_dword v104, v90, s[4:5] offset:792
	;; [unrolled: 1-line block ×10, first 2 shown]
	v_mov_b32_e32 v91, 0
	v_lshl_add_u64 v[92:93], s[4:5], 0, v[90:91]
	ds_read2_b32 v[102:103], v16 offset1:99
	v_add_co_u32_e64 v90, s[0:1], s0, v92
	s_waitcnt lgkmcnt(0)
	v_lshrrev_b32_e32 v105, 16, v102
	v_addc_co_u32_e64 v91, s[0:1], 0, v93, s[0:1]
	global_load_dword v162, v[90:91], off offset:260
	global_load_dword v160, v[90:91], off offset:2240
	s_waitcnt vmcnt(12)
	v_mul_f16_sdwa v161, v105, v99 dst_sel:DWORD dst_unused:UNUSED_PAD src0_sel:DWORD src1_sel:WORD_1
	v_fma_f16 v161, v102, v99, -v161
	v_mul_f16_sdwa v102, v102, v99 dst_sel:DWORD dst_unused:UNUSED_PAD src0_sel:DWORD src1_sel:WORD_1
	v_fma_f16 v99, v105, v99, v102
	v_lshrrev_b32_e32 v102, 16, v103
	v_pack_b32_f16 v99, v161, v99
	global_load_dword v161, v[90:91], off offset:656
	s_waitcnt vmcnt(12)
	v_mul_f16_sdwa v105, v102, v101 dst_sel:DWORD dst_unused:UNUSED_PAD src0_sel:DWORD src1_sel:WORD_1
	v_fma_f16 v105, v103, v101, -v105
	v_mul_f16_sdwa v103, v103, v101 dst_sel:DWORD dst_unused:UNUSED_PAD src0_sel:DWORD src1_sel:WORD_1
	v_fma_f16 v101, v102, v101, v103
	v_pack_b32_f16 v101, v105, v101
	ds_write2_b32 v16, v99, v101 offset1:99
	v_add_u32_e32 v99, 0x200, v16
	ds_read2_b32 v[102:103], v99 offset0:70 offset1:169
	global_load_dword v101, v[90:91], off offset:1052
	global_load_dword v163, v[90:91], off offset:1448
	;; [unrolled: 1-line block ×3, first 2 shown]
	s_waitcnt lgkmcnt(0)
	v_lshrrev_b32_e32 v105, 16, v102
	s_waitcnt vmcnt(14)
	v_mul_f16_sdwa v165, v105, v104 dst_sel:DWORD dst_unused:UNUSED_PAD src0_sel:DWORD src1_sel:WORD_1
	v_fma_f16 v165, v102, v104, -v165
	v_mul_f16_sdwa v102, v102, v104 dst_sel:DWORD dst_unused:UNUSED_PAD src0_sel:DWORD src1_sel:WORD_1
	v_fma_f16 v102, v105, v104, v102
	v_pack_b32_f16 v102, v165, v102
	v_lshrrev_b32_e32 v165, 16, v103
	s_waitcnt vmcnt(13)
	v_mul_f16_sdwa v104, v165, v152 dst_sel:DWORD dst_unused:UNUSED_PAD src0_sel:DWORD src1_sel:WORD_1
	v_fma_f16 v166, v103, v152, -v104
	ds_read2_b32 v[104:105], v97 offset0:140 offset1:239
	v_mul_f16_sdwa v103, v103, v152 dst_sel:DWORD dst_unused:UNUSED_PAD src0_sel:DWORD src1_sel:WORD_1
	v_fma_f16 v103, v165, v152, v103
	v_pack_b32_f16 v103, v166, v103
	ds_write2_b32 v99, v102, v103 offset0:70 offset1:169
	s_waitcnt lgkmcnt(1)
	v_lshrrev_b32_e32 v102, 16, v104
	s_waitcnt vmcnt(12)
	v_mul_f16_sdwa v103, v102, v153 dst_sel:DWORD dst_unused:UNUSED_PAD src0_sel:DWORD src1_sel:WORD_1
	v_fma_f16 v103, v104, v153, -v103
	v_mul_f16_sdwa v104, v104, v153 dst_sel:DWORD dst_unused:UNUSED_PAD src0_sel:DWORD src1_sel:WORD_1
	v_fma_f16 v102, v102, v153, v104
	v_lshrrev_b32_e32 v152, 16, v105
	v_pack_b32_f16 v104, v103, v102
	s_waitcnt vmcnt(11)
	v_mul_f16_sdwa v102, v152, v154 dst_sel:DWORD dst_unused:UNUSED_PAD src0_sel:DWORD src1_sel:WORD_1
	v_fma_f16 v153, v105, v154, -v102
	ds_read2_b32 v[102:103], v25 offset0:82 offset1:181
	v_mul_f16_sdwa v105, v105, v154 dst_sel:DWORD dst_unused:UNUSED_PAD src0_sel:DWORD src1_sel:WORD_1
	v_fma_f16 v105, v152, v154, v105
	v_pack_b32_f16 v105, v153, v105
	ds_write2_b32 v97, v104, v105 offset0:140 offset1:239
	s_waitcnt lgkmcnt(1)
	v_lshrrev_b32_e32 v104, 16, v102
	s_waitcnt vmcnt(10)
	v_mul_f16_sdwa v105, v104, v155 dst_sel:DWORD dst_unused:UNUSED_PAD src0_sel:DWORD src1_sel:WORD_1
	v_fma_f16 v105, v102, v155, -v105
	v_mul_f16_sdwa v102, v102, v155 dst_sel:DWORD dst_unused:UNUSED_PAD src0_sel:DWORD src1_sel:WORD_1
	v_lshrrev_b32_e32 v152, 16, v103
	v_fma_f16 v102, v104, v155, v102
	s_waitcnt vmcnt(9)
	v_mul_f16_sdwa v104, v152, v156 dst_sel:DWORD dst_unused:UNUSED_PAD src0_sel:DWORD src1_sel:WORD_1
	v_pack_b32_f16 v102, v105, v102
	v_fma_f16 v153, v103, v156, -v104
	ds_read2_b32 v[104:105], v96 offset0:24 offset1:123
	v_mul_f16_sdwa v103, v103, v156 dst_sel:DWORD dst_unused:UNUSED_PAD src0_sel:DWORD src1_sel:WORD_1
	v_fma_f16 v103, v152, v156, v103
	v_pack_b32_f16 v103, v153, v103
	ds_write2_b32 v25, v102, v103 offset0:82 offset1:181
	s_waitcnt lgkmcnt(1)
	v_lshrrev_b32_e32 v102, 16, v104
	s_waitcnt vmcnt(8)
	v_mul_f16_sdwa v103, v102, v157 dst_sel:DWORD dst_unused:UNUSED_PAD src0_sel:DWORD src1_sel:WORD_1
	v_fma_f16 v103, v104, v157, -v103
	v_mul_f16_sdwa v104, v104, v157 dst_sel:DWORD dst_unused:UNUSED_PAD src0_sel:DWORD src1_sel:WORD_1
	v_fma_f16 v102, v102, v157, v104
	v_lshrrev_b32_e32 v152, 16, v105
	v_pack_b32_f16 v104, v103, v102
	s_waitcnt vmcnt(7)
	v_mul_f16_sdwa v102, v152, v158 dst_sel:DWORD dst_unused:UNUSED_PAD src0_sel:DWORD src1_sel:WORD_1
	v_fma_f16 v153, v105, v158, -v102
	ds_read2_b32 v[102:103], v100 offset0:94 offset1:193
	v_mul_f16_sdwa v105, v105, v158 dst_sel:DWORD dst_unused:UNUSED_PAD src0_sel:DWORD src1_sel:WORD_1
	v_fma_f16 v105, v152, v158, v105
	v_pack_b32_f16 v105, v153, v105
	ds_write2_b32 v96, v104, v105 offset0:24 offset1:123
	s_waitcnt lgkmcnt(1)
	v_lshrrev_b32_e32 v104, 16, v102
	s_waitcnt vmcnt(6)
	v_mul_f16_sdwa v105, v104, v159 dst_sel:DWORD dst_unused:UNUSED_PAD src0_sel:DWORD src1_sel:WORD_1
	v_fma_f16 v105, v102, v159, -v105
	v_mul_f16_sdwa v102, v102, v159 dst_sel:DWORD dst_unused:UNUSED_PAD src0_sel:DWORD src1_sel:WORD_1
	v_lshrrev_b32_e32 v153, 16, v103
	v_fma_f16 v102, v104, v159, v102
	s_waitcnt vmcnt(5)
	v_mul_f16_sdwa v104, v153, v162 dst_sel:DWORD dst_unused:UNUSED_PAD src0_sel:DWORD src1_sel:WORD_1
	v_add_u32_e32 v152, 0x1200, v16
	v_pack_b32_f16 v102, v105, v102
	v_fma_f16 v154, v103, v162, -v104
	ds_read2_b32 v[104:105], v152 offset0:36 offset1:135
	v_mul_f16_sdwa v103, v103, v162 dst_sel:DWORD dst_unused:UNUSED_PAD src0_sel:DWORD src1_sel:WORD_1
	v_fma_f16 v103, v153, v162, v103
	v_pack_b32_f16 v103, v154, v103
	ds_write2_b32 v100, v102, v103 offset0:94 offset1:193
	s_waitcnt lgkmcnt(1)
	v_lshrrev_b32_e32 v102, 16, v104
	s_waitcnt vmcnt(3)
	v_mul_f16_sdwa v103, v102, v161 dst_sel:DWORD dst_unused:UNUSED_PAD src0_sel:DWORD src1_sel:WORD_1
	v_fma_f16 v103, v104, v161, -v103
	v_mul_f16_sdwa v104, v104, v161 dst_sel:DWORD dst_unused:UNUSED_PAD src0_sel:DWORD src1_sel:WORD_1
	v_fma_f16 v102, v102, v161, v104
	v_lshrrev_b32_e32 v153, 16, v105
	v_pack_b32_f16 v104, v103, v102
	s_waitcnt vmcnt(2)
	v_mul_f16_sdwa v102, v153, v101 dst_sel:DWORD dst_unused:UNUSED_PAD src0_sel:DWORD src1_sel:WORD_1
	v_fma_f16 v154, v105, v101, -v102
	ds_read2_b32 v[102:103], v136 offset0:106 offset1:205
	v_mul_f16_sdwa v105, v105, v101 dst_sel:DWORD dst_unused:UNUSED_PAD src0_sel:DWORD src1_sel:WORD_1
	v_fma_f16 v101, v153, v101, v105
	v_pack_b32_f16 v101, v154, v101
	ds_write2_b32 v152, v104, v101 offset0:36 offset1:135
	s_waitcnt lgkmcnt(1)
	v_lshrrev_b32_e32 v101, 16, v102
	s_waitcnt vmcnt(1)
	v_mul_f16_sdwa v104, v101, v163 dst_sel:DWORD dst_unused:UNUSED_PAD src0_sel:DWORD src1_sel:WORD_1
	v_fma_f16 v104, v102, v163, -v104
	v_mul_f16_sdwa v102, v102, v163 dst_sel:DWORD dst_unused:UNUSED_PAD src0_sel:DWORD src1_sel:WORD_1
	v_fma_f16 v101, v101, v163, v102
	v_lshrrev_b32_e32 v102, 16, v103
	ds_read_b32 v105, v16 offset:6336
	v_pack_b32_f16 v101, v104, v101
	s_waitcnt vmcnt(0)
	v_mul_f16_sdwa v104, v102, v164 dst_sel:DWORD dst_unused:UNUSED_PAD src0_sel:DWORD src1_sel:WORD_1
	v_fma_f16 v104, v103, v164, -v104
	v_mul_f16_sdwa v103, v103, v164 dst_sel:DWORD dst_unused:UNUSED_PAD src0_sel:DWORD src1_sel:WORD_1
	v_fma_f16 v102, v102, v164, v103
	v_pack_b32_f16 v102, v104, v102
	ds_write2_b32 v136, v101, v102 offset0:106 offset1:205
	s_waitcnt lgkmcnt(1)
	v_lshrrev_b32_e32 v101, 16, v105
	v_mul_f16_sdwa v102, v101, v160 dst_sel:DWORD dst_unused:UNUSED_PAD src0_sel:DWORD src1_sel:WORD_1
	v_mul_f16_sdwa v103, v105, v160 dst_sel:DWORD dst_unused:UNUSED_PAD src0_sel:DWORD src1_sel:WORD_1
	v_fma_f16 v102, v105, v160, -v102
	v_fma_f16 v101, v101, v160, v103
	v_pack_b32_f16 v101, v102, v101
	ds_write_b32 v16, v101 offset:6336
	s_and_saveexec_b64 s[0:1], vcc
	s_cbranch_execz .LBB0_9
; %bb.8:
	global_load_dword v101, v[92:93], off offset:204
	global_load_dword v102, v[92:93], off offset:600
	;; [unrolled: 1-line block ×11, first 2 shown]
	ds_read2_b32 v[92:93], v16 offset0:51 offset1:150
	global_load_dword v164, v[90:91], off offset:464
	global_load_dword v165, v[90:91], off offset:860
	;; [unrolled: 1-line block ×5, first 2 shown]
	v_mov_b32_e32 v103, 0x1800
	v_lshl_or_b32 v90, v18, 2, v103
	global_load_dword v169, v90, s[4:5]
	s_waitcnt lgkmcnt(0)
	v_lshrrev_b32_e32 v90, 16, v92
	v_lshrrev_b32_e32 v91, 16, v93
	s_waitcnt vmcnt(16)
	v_mul_f16_sdwa v103, v90, v101 dst_sel:DWORD dst_unused:UNUSED_PAD src0_sel:DWORD src1_sel:WORD_1
	v_mul_f16_sdwa v104, v92, v101 dst_sel:DWORD dst_unused:UNUSED_PAD src0_sel:DWORD src1_sel:WORD_1
	s_waitcnt vmcnt(15)
	v_mul_f16_sdwa v105, v91, v102 dst_sel:DWORD dst_unused:UNUSED_PAD src0_sel:DWORD src1_sel:WORD_1
	v_mul_f16_sdwa v154, v93, v102 dst_sel:DWORD dst_unused:UNUSED_PAD src0_sel:DWORD src1_sel:WORD_1
	v_fma_f16 v92, v92, v101, -v103
	v_fma_f16 v90, v90, v101, v104
	v_fma_f16 v93, v93, v102, -v105
	v_fma_f16 v91, v91, v102, v154
	v_pack_b32_f16 v90, v92, v90
	v_pack_b32_f16 v91, v93, v91
	ds_write2_b32 v16, v90, v91 offset0:51 offset1:150
	ds_read2_b32 v[90:91], v99 offset0:121 offset1:220
	ds_read2_b32 v[92:93], v95 offset0:63 offset1:162
	;; [unrolled: 1-line block ×5, first 2 shown]
	s_waitcnt lgkmcnt(4)
	v_lshrrev_b32_e32 v101, 16, v90
	s_waitcnt vmcnt(14)
	v_mul_f16_sdwa v170, v90, v153 dst_sel:DWORD dst_unused:UNUSED_PAD src0_sel:DWORD src1_sel:WORD_1
	v_lshrrev_b32_e32 v171, 16, v91
	s_waitcnt vmcnt(13)
	v_mul_f16_sdwa v172, v91, v156 dst_sel:DWORD dst_unused:UNUSED_PAD src0_sel:DWORD src1_sel:WORD_1
	s_waitcnt lgkmcnt(3)
	v_lshrrev_b32_e32 v173, 16, v92
	s_waitcnt vmcnt(12)
	v_mul_f16_sdwa v174, v92, v157 dst_sel:DWORD dst_unused:UNUSED_PAD src0_sel:DWORD src1_sel:WORD_1
	v_lshrrev_b32_e32 v175, 16, v93
	s_waitcnt vmcnt(11)
	v_mul_f16_sdwa v176, v93, v158 dst_sel:DWORD dst_unused:UNUSED_PAD src0_sel:DWORD src1_sel:WORD_1
	;; [unrolled: 7-line block ×3, first 2 shown]
	s_waitcnt lgkmcnt(1)
	v_lshrrev_b32_e32 v181, 16, v104
	s_waitcnt vmcnt(8)
	v_mul_f16_sdwa v182, v104, v161 dst_sel:DWORD dst_unused:UNUSED_PAD src0_sel:DWORD src1_sel:WORD_1
	v_lshrrev_b32_e32 v183, 16, v105
	v_mul_f16_sdwa v187, v101, v153 dst_sel:DWORD dst_unused:UNUSED_PAD src0_sel:DWORD src1_sel:WORD_1
	v_fma_f16 v101, v101, v153, v170
	v_mul_f16_sdwa v170, v171, v156 dst_sel:DWORD dst_unused:UNUSED_PAD src0_sel:DWORD src1_sel:WORD_1
	v_fma_f16 v171, v171, v156, v172
	;; [unrolled: 2-line block ×3, first 2 shown]
	v_mul_f16_sdwa v174, v175, v158 dst_sel:DWORD dst_unused:UNUSED_PAD src0_sel:DWORD src1_sel:WORD_1
	s_waitcnt vmcnt(7)
	v_mul_f16_sdwa v184, v105, v162 dst_sel:DWORD dst_unused:UNUSED_PAD src0_sel:DWORD src1_sel:WORD_1
	s_waitcnt lgkmcnt(0)
	v_lshrrev_b32_e32 v185, 16, v154
	v_fma_f16 v175, v175, v158, v176
	v_mul_f16_sdwa v176, v177, v159 dst_sel:DWORD dst_unused:UNUSED_PAD src0_sel:DWORD src1_sel:WORD_1
	v_fma_f16 v177, v177, v159, v178
	v_mul_f16_sdwa v178, v179, v160 dst_sel:DWORD dst_unused:UNUSED_PAD src0_sel:DWORD src1_sel:WORD_1
	;; [unrolled: 2-line block ×4, first 2 shown]
	v_fma_f16 v90, v90, v153, -v187
	v_fma_f16 v91, v91, v156, -v170
	;; [unrolled: 1-line block ×3, first 2 shown]
	s_waitcnt vmcnt(6)
	v_mul_f16_sdwa v186, v154, v163 dst_sel:DWORD dst_unused:UNUSED_PAD src0_sel:DWORD src1_sel:WORD_1
	v_fma_f16 v183, v183, v162, v184
	v_mul_f16_sdwa v184, v185, v163 dst_sel:DWORD dst_unused:UNUSED_PAD src0_sel:DWORD src1_sel:WORD_1
	v_fma_f16 v92, v92, v157, -v172
	v_fma_f16 v102, v102, v159, -v176
	;; [unrolled: 1-line block ×5, first 2 shown]
	v_pack_b32_f16 v90, v90, v101
	v_pack_b32_f16 v91, v91, v171
	;; [unrolled: 1-line block ×3, first 2 shown]
	v_fma_f16 v153, v154, v163, -v184
	v_pack_b32_f16 v92, v92, v173
	v_pack_b32_f16 v101, v102, v177
	;; [unrolled: 1-line block ×5, first 2 shown]
	ds_write2_b32 v99, v90, v91 offset0:121 offset1:220
	ds_write2_b32 v95, v92, v93 offset0:63 offset1:162
	;; [unrolled: 1-line block ×4, first 2 shown]
	v_fma_f16 v90, v185, v163, v186
	v_lshrrev_b32_e32 v93, 16, v155
	v_pack_b32_f16 v92, v153, v90
	s_waitcnt vmcnt(5)
	v_mul_f16_sdwa v90, v93, v164 dst_sel:DWORD dst_unused:UNUSED_PAD src0_sel:DWORD src1_sel:WORD_1
	v_fma_f16 v95, v155, v164, -v90
	ds_read2_b32 v[90:91], v152 offset0:87 offset1:186
	v_mul_f16_sdwa v101, v155, v164 dst_sel:DWORD dst_unused:UNUSED_PAD src0_sel:DWORD src1_sel:WORD_1
	v_fma_f16 v93, v93, v164, v101
	v_pack_b32_f16 v93, v95, v93
	ds_write2_b32 v94, v92, v93 offset0:17 offset1:116
	s_waitcnt lgkmcnt(1)
	v_lshrrev_b32_e32 v92, 16, v90
	s_waitcnt vmcnt(4)
	v_mul_f16_sdwa v93, v92, v165 dst_sel:DWORD dst_unused:UNUSED_PAD src0_sel:DWORD src1_sel:WORD_1
	v_fma_f16 v93, v90, v165, -v93
	v_mul_f16_sdwa v90, v90, v165 dst_sel:DWORD dst_unused:UNUSED_PAD src0_sel:DWORD src1_sel:WORD_1
	v_lshrrev_b32_e32 v94, 16, v91
	v_fma_f16 v90, v92, v165, v90
	s_waitcnt vmcnt(3)
	v_mul_f16_sdwa v92, v94, v166 dst_sel:DWORD dst_unused:UNUSED_PAD src0_sel:DWORD src1_sel:WORD_1
	v_pack_b32_f16 v90, v93, v90
	v_fma_f16 v95, v91, v166, -v92
	ds_read2_b32 v[92:93], v98 offset0:29 offset1:128
	v_mul_f16_sdwa v91, v91, v166 dst_sel:DWORD dst_unused:UNUSED_PAD src0_sel:DWORD src1_sel:WORD_1
	v_fma_f16 v91, v94, v166, v91
	v_pack_b32_f16 v91, v95, v91
	ds_write2_b32 v152, v90, v91 offset0:87 offset1:186
	s_waitcnt lgkmcnt(1)
	v_lshrrev_b32_e32 v90, 16, v92
	s_waitcnt vmcnt(2)
	v_mul_f16_sdwa v91, v90, v167 dst_sel:DWORD dst_unused:UNUSED_PAD src0_sel:DWORD src1_sel:WORD_1
	v_fma_f16 v91, v92, v167, -v91
	v_mul_f16_sdwa v92, v92, v167 dst_sel:DWORD dst_unused:UNUSED_PAD src0_sel:DWORD src1_sel:WORD_1
	v_fma_f16 v90, v90, v167, v92
	v_pack_b32_f16 v90, v91, v90
	v_lshrrev_b32_e32 v91, 16, v93
	ds_read_b32 v94, v16 offset:6540
	s_waitcnt vmcnt(0)
	v_mul_f16_sdwa v92, v91, v169 dst_sel:DWORD dst_unused:UNUSED_PAD src0_sel:DWORD src1_sel:WORD_1
	v_fma_f16 v92, v93, v169, -v92
	v_mul_f16_sdwa v93, v93, v169 dst_sel:DWORD dst_unused:UNUSED_PAD src0_sel:DWORD src1_sel:WORD_1
	v_fma_f16 v91, v91, v169, v93
	v_pack_b32_f16 v91, v92, v91
	ds_write2_b32 v98, v90, v91 offset0:29 offset1:128
	s_waitcnt lgkmcnt(1)
	v_lshrrev_b32_e32 v90, 16, v94
	v_mul_f16_sdwa v91, v90, v168 dst_sel:DWORD dst_unused:UNUSED_PAD src0_sel:DWORD src1_sel:WORD_1
	v_mul_f16_sdwa v92, v94, v168 dst_sel:DWORD dst_unused:UNUSED_PAD src0_sel:DWORD src1_sel:WORD_1
	v_fma_f16 v91, v94, v168, -v91
	v_fma_f16 v90, v90, v168, v92
	v_pack_b32_f16 v90, v91, v90
	ds_write_b32 v16, v90 offset:6540
.LBB0_9:
	s_or_b64 exec, exec, s[0:1]
	s_waitcnt lgkmcnt(0)
	; wave barrier
	s_waitcnt lgkmcnt(0)
	ds_read2_b32 v[90:91], v16 offset1:99
	ds_read2_b32 v[104:105], v99 offset0:70 offset1:169
	ds_read2_b32 v[102:103], v97 offset0:140 offset1:239
	;; [unrolled: 1-line block ×7, first 2 shown]
	ds_read_b32 v25, v16 offset:6336
	s_and_saveexec_b64 s[0:1], vcc
	s_cbranch_execz .LBB0_11
; %bb.10:
	v_add_u32_e32 v19, 0x200, v16
	ds_read2_b32 v[76:77], v19 offset0:121 offset1:220
	v_add_u32_e32 v19, 0x600, v16
	v_add_u32_e32 v80, 0x800, v16
	;; [unrolled: 1-line block ×6, first 2 shown]
	ds_read2_b32 v[74:75], v16 offset0:51 offset1:150
	ds_read2_b32 v[78:79], v19 offset0:63 offset1:162
	;; [unrolled: 1-line block ×7, first 2 shown]
	ds_read_b32 v122, v16 offset:6540
	s_waitcnt lgkmcnt(7)
	v_lshrrev_b32_e32 v19, 16, v74
	v_lshrrev_b32_e32 v137, 16, v75
	;; [unrolled: 1-line block ×4, first 2 shown]
	s_waitcnt lgkmcnt(6)
	v_lshrrev_b32_e32 v140, 16, v78
	v_lshrrev_b32_e32 v141, 16, v79
	s_waitcnt lgkmcnt(5)
	v_lshrrev_b32_e32 v142, 16, v80
	v_lshrrev_b32_e32 v143, 16, v81
	;; [unrolled: 3-line block ×6, first 2 shown]
	s_waitcnt lgkmcnt(0)
	v_lshrrev_b32_e32 v121, 16, v122
.LBB0_11:
	s_or_b64 exec, exec, s[0:1]
	s_waitcnt lgkmcnt(8)
	v_pk_add_f16 v136, v90, v91
	s_mov_b32 s7, 0xb5c8
	s_waitcnt lgkmcnt(7)
	v_pk_add_f16 v136, v136, v104
	s_movk_i32 s5, 0x3b76
	v_pk_add_f16 v136, v136, v105
	s_movk_i32 s18, 0x35c8
	s_waitcnt lgkmcnt(6)
	v_pk_add_f16 v136, v136, v102
	s_mov_b32 s15, 0xb964
	v_pk_add_f16 v136, v136, v103
	s_movk_i32 s6, 0x39e9
	s_waitcnt lgkmcnt(5)
	v_pk_add_f16 v136, v136, v98
	s_movk_i32 s27, 0x3964
	v_pk_add_f16 v136, v136, v99
	s_mov_b32 s17, 0xbb29
	s_waitcnt lgkmcnt(4)
	v_pk_add_f16 v136, v136, v94
	s_movk_i32 s14, 0x3722
	v_pk_add_f16 v136, v136, v95
	s_movk_i32 s23, 0x3b29
	s_waitcnt lgkmcnt(3)
	v_pk_add_f16 v136, v136, v100
	s_mov_b32 s20, 0xbbf7
	v_pk_add_f16 v136, v136, v101
	s_movk_i32 s16, 0x2de8
	s_waitcnt lgkmcnt(2)
	v_pk_add_f16 v152, v136, v96
	s_waitcnt lgkmcnt(0)
	v_pk_add_f16 v136, v25, v91
	v_pk_add_f16 v91, v91, v25 neg_lo:[0,1] neg_hi:[0,1]
	v_mul_f16_sdwa v155, v136, s5 dst_sel:DWORD dst_unused:UNUSED_PAD src0_sel:WORD_1 src1_sel:DWORD
	v_mul_f16_sdwa v153, v91, s7 dst_sel:DWORD dst_unused:UNUSED_PAD src0_sel:WORD_1 src1_sel:DWORD
	v_fma_f16 v154, v136, s5, v153
	v_fma_f16 v153, v136, s5, -v153
	v_add_f16_e32 v157, v90, v153
	v_fma_f16 v153, v91, s7, v155
	v_fma_f16 v156, v91, s18, v155
	v_add_f16_sdwa v155, v90, v153 dst_sel:DWORD dst_unused:UNUSED_PAD src0_sel:WORD_1 src1_sel:DWORD
	v_mul_f16_sdwa v153, v91, s15 dst_sel:DWORD dst_unused:UNUSED_PAD src0_sel:WORD_1 src1_sel:DWORD
	v_fma_f16 v158, v136, s6, v153
	v_mul_f16_sdwa v159, v136, s6 dst_sel:DWORD dst_unused:UNUSED_PAD src0_sel:WORD_1 src1_sel:DWORD
	v_fma_f16 v153, v136, s6, -v153
	v_add_f16_e32 v161, v90, v153
	v_fma_f16 v153, v91, s15, v159
	v_fma_f16 v160, v91, s27, v159
	v_add_f16_sdwa v159, v90, v153 dst_sel:DWORD dst_unused:UNUSED_PAD src0_sel:WORD_1 src1_sel:DWORD
	v_mul_f16_sdwa v153, v91, s17 dst_sel:DWORD dst_unused:UNUSED_PAD src0_sel:WORD_1 src1_sel:DWORD
	v_fma_f16 v162, v136, s14, v153
	v_mul_f16_sdwa v163, v136, s14 dst_sel:DWORD dst_unused:UNUSED_PAD src0_sel:WORD_1 src1_sel:DWORD
	;; [unrolled: 8-line block ×3, first 2 shown]
	v_fma_f16 v153, v136, s16, -v153
	s_movk_i32 s34, 0x3bf7
	v_add_f16_e32 v169, v90, v153
	v_fma_f16 v153, v91, s20, v167
	s_mov_b32 s22, 0xbbb2
	v_fma_f16 v168, v91, s34, v167
	v_add_f16_sdwa v167, v90, v153 dst_sel:DWORD dst_unused:UNUSED_PAD src0_sel:WORD_1 src1_sel:DWORD
	v_mul_f16_sdwa v153, v91, s22 dst_sel:DWORD dst_unused:UNUSED_PAD src0_sel:WORD_1 src1_sel:DWORD
	s_mov_b32 s19, 0xb461
	v_fma_f16 v170, v136, s19, v153
	v_mul_f16_sdwa v171, v136, s19 dst_sel:DWORD dst_unused:UNUSED_PAD src0_sel:WORD_1 src1_sel:DWORD
	v_fma_f16 v153, v136, s19, -v153
	s_movk_i32 s28, 0x3bb2
	v_add_f16_e32 v173, v90, v153
	v_fma_f16 v153, v91, s22, v171
	s_mov_b32 s25, 0xba62
	v_fma_f16 v172, v91, s28, v171
	v_add_f16_sdwa v171, v90, v153 dst_sel:DWORD dst_unused:UNUSED_PAD src0_sel:WORD_1 src1_sel:DWORD
	v_mul_f16_sdwa v153, v91, s25 dst_sel:DWORD dst_unused:UNUSED_PAD src0_sel:WORD_1 src1_sel:DWORD
	s_mov_b32 s21, 0xb8d2
	v_fma_f16 v174, v136, s21, v153
	v_mul_f16_sdwa v175, v136, s21 dst_sel:DWORD dst_unused:UNUSED_PAD src0_sel:WORD_1 src1_sel:DWORD
	;; [unrolled: 11-line block ×3, first 2 shown]
	v_fma_f16 v153, v136, s24, -v153
	s_movk_i32 s30, 0x3836
	v_add_f16_e32 v181, v90, v153
	v_fma_f16 v153, v91, s26, v179
	v_fma_f16 v180, v91, s30, v179
	v_add_f16_sdwa v179, v90, v153 dst_sel:DWORD dst_unused:UNUSED_PAD src0_sel:WORD_1 src1_sel:DWORD
	v_pk_add_f16 v153, v93, v104
	v_pk_add_f16 v104, v104, v93 neg_lo:[0,1] neg_hi:[0,1]
	v_add_f16_e32 v154, v90, v154
	v_mul_f16_sdwa v182, v104, s15 dst_sel:DWORD dst_unused:UNUSED_PAD src0_sel:WORD_1 src1_sel:DWORD
	v_fma_f16 v183, v153, s6, v182
	v_add_f16_e32 v154, v183, v154
	v_mul_f16_sdwa v183, v153, s6 dst_sel:DWORD dst_unused:UNUSED_PAD src0_sel:WORD_1 src1_sel:DWORD
	v_fma_f16 v182, v153, s6, -v182
	v_add_f16_e32 v157, v182, v157
	v_fma_f16 v182, v104, s15, v183
	v_add_f16_e32 v155, v182, v155
	v_mul_f16_sdwa v182, v104, s20 dst_sel:DWORD dst_unused:UNUSED_PAD src0_sel:WORD_1 src1_sel:DWORD
	v_add_f16_e32 v158, v90, v158
	v_fma_f16 v184, v104, s27, v183
	v_fma_f16 v183, v153, s16, v182
	v_add_f16_e32 v158, v183, v158
	v_mul_f16_sdwa v183, v153, s16 dst_sel:DWORD dst_unused:UNUSED_PAD src0_sel:WORD_1 src1_sel:DWORD
	v_fma_f16 v182, v153, s16, -v182
	v_add_f16_e32 v161, v182, v161
	v_fma_f16 v182, v104, s20, v183
	v_add_f16_sdwa v156, v90, v156 dst_sel:DWORD dst_unused:UNUSED_PAD src0_sel:WORD_1 src1_sel:DWORD
	v_add_f16_e32 v159, v182, v159
	v_mul_f16_sdwa v182, v104, s25 dst_sel:DWORD dst_unused:UNUSED_PAD src0_sel:WORD_1 src1_sel:DWORD
	v_add_f16_e32 v162, v90, v162
	v_add_f16_e32 v156, v184, v156
	v_fma_f16 v184, v104, s34, v183
	v_fma_f16 v183, v153, s21, v182
	v_add_f16_e32 v162, v183, v162
	v_mul_f16_sdwa v183, v153, s21 dst_sel:DWORD dst_unused:UNUSED_PAD src0_sel:WORD_1 src1_sel:DWORD
	v_fma_f16 v182, v153, s21, -v182
	v_add_f16_e32 v165, v182, v165
	v_fma_f16 v182, v104, s25, v183
	s_mov_b32 s31, 0xb1e1
	v_add_f16_sdwa v160, v90, v160 dst_sel:DWORD dst_unused:UNUSED_PAD src0_sel:WORD_1 src1_sel:DWORD
	v_add_f16_e32 v163, v182, v163
	v_mul_f16_sdwa v182, v104, s31 dst_sel:DWORD dst_unused:UNUSED_PAD src0_sel:WORD_1 src1_sel:DWORD
	s_mov_b32 s29, 0xbbdd
	v_add_f16_e32 v166, v90, v166
	v_add_f16_e32 v160, v184, v160
	v_fma_f16 v184, v104, s33, v183
	v_fma_f16 v183, v153, s29, v182
	v_add_f16_e32 v166, v183, v166
	v_mul_f16_sdwa v183, v153, s29 dst_sel:DWORD dst_unused:UNUSED_PAD src0_sel:WORD_1 src1_sel:DWORD
	v_fma_f16 v182, v153, s29, -v182
	v_add_f16_e32 v169, v182, v169
	v_fma_f16 v182, v104, s31, v183
	v_add_f16_sdwa v164, v90, v164 dst_sel:DWORD dst_unused:UNUSED_PAD src0_sel:WORD_1 src1_sel:DWORD
	s_movk_i32 s35, 0x31e1
	v_add_f16_e32 v167, v182, v167
	v_mul_f16_sdwa v182, v104, s30 dst_sel:DWORD dst_unused:UNUSED_PAD src0_sel:WORD_1 src1_sel:DWORD
	v_add_f16_e32 v170, v90, v170
	v_add_f16_e32 v164, v184, v164
	v_fma_f16 v184, v104, s35, v183
	v_fma_f16 v183, v153, s24, v182
	v_add_f16_e32 v170, v183, v170
	v_mul_f16_sdwa v183, v153, s24 dst_sel:DWORD dst_unused:UNUSED_PAD src0_sel:WORD_1 src1_sel:DWORD
	v_fma_f16 v182, v153, s24, -v182
	v_add_f16_e32 v173, v182, v173
	v_fma_f16 v182, v104, s30, v183
	v_add_f16_sdwa v168, v90, v168 dst_sel:DWORD dst_unused:UNUSED_PAD src0_sel:WORD_1 src1_sel:DWORD
	v_add_f16_e32 v171, v182, v171
	v_mul_f16_sdwa v182, v104, s28 dst_sel:DWORD dst_unused:UNUSED_PAD src0_sel:WORD_1 src1_sel:DWORD
	v_add_f16_e32 v174, v90, v174
	v_add_f16_e32 v168, v184, v168
	v_fma_f16 v184, v104, s26, v183
	v_fma_f16 v183, v153, s19, v182
	v_add_f16_e32 v174, v183, v174
	v_mul_f16_sdwa v183, v153, s19 dst_sel:DWORD dst_unused:UNUSED_PAD src0_sel:WORD_1 src1_sel:DWORD
	v_fma_f16 v182, v153, s19, -v182
	v_add_f16_e32 v177, v182, v177
	v_fma_f16 v182, v104, s28, v183
	v_add_f16_sdwa v172, v90, v172 dst_sel:DWORD dst_unused:UNUSED_PAD src0_sel:WORD_1 src1_sel:DWORD
	;; [unrolled: 12-line block ×3, first 2 shown]
	v_add_f16_e32 v179, v182, v179
	v_pk_add_f16 v182, v92, v105
	v_pk_add_f16 v105, v105, v92 neg_lo:[0,1] neg_hi:[0,1]
	v_add_f16_sdwa v180, v90, v180 dst_sel:DWORD dst_unused:UNUSED_PAD src0_sel:WORD_1 src1_sel:DWORD
	v_add_f16_e32 v176, v184, v176
	v_fma_f16 v184, v104, s17, v183
	v_mul_f16_sdwa v183, v105, s17 dst_sel:DWORD dst_unused:UNUSED_PAD src0_sel:WORD_1 src1_sel:DWORD
	v_add_f16_e32 v180, v184, v180
	v_fma_f16 v184, v182, s14, v183
	v_add_f16_e32 v154, v184, v154
	v_mul_f16_sdwa v184, v182, s14 dst_sel:DWORD dst_unused:UNUSED_PAD src0_sel:WORD_1 src1_sel:DWORD
	v_fma_f16 v183, v182, s14, -v183
	v_add_f16_e32 v157, v183, v157
	v_fma_f16 v183, v105, s17, v184
	v_add_f16_e32 v155, v183, v155
	v_mul_f16_sdwa v183, v105, s25 dst_sel:DWORD dst_unused:UNUSED_PAD src0_sel:WORD_1 src1_sel:DWORD
	v_fma_f16 v185, v105, s23, v184
	v_fma_f16 v184, v182, s21, v183
	v_add_f16_e32 v158, v184, v158
	v_mul_f16_sdwa v184, v182, s21 dst_sel:DWORD dst_unused:UNUSED_PAD src0_sel:WORD_1 src1_sel:DWORD
	v_fma_f16 v183, v182, s21, -v183
	v_add_f16_e32 v161, v183, v161
	v_fma_f16 v183, v105, s25, v184
	v_add_f16_e32 v159, v183, v159
	v_mul_f16_sdwa v183, v105, s35 dst_sel:DWORD dst_unused:UNUSED_PAD src0_sel:WORD_1 src1_sel:DWORD
	v_add_f16_e32 v156, v185, v156
	v_fma_f16 v185, v105, s33, v184
	v_fma_f16 v184, v182, s29, v183
	v_add_f16_e32 v162, v184, v162
	v_mul_f16_sdwa v184, v182, s29 dst_sel:DWORD dst_unused:UNUSED_PAD src0_sel:WORD_1 src1_sel:DWORD
	v_fma_f16 v183, v182, s29, -v183
	v_add_f16_e32 v165, v183, v165
	v_fma_f16 v183, v105, s35, v184
	v_add_f16_e32 v163, v183, v163
	v_mul_f16_sdwa v183, v105, s28 dst_sel:DWORD dst_unused:UNUSED_PAD src0_sel:WORD_1 src1_sel:DWORD
	v_add_f16_e32 v160, v185, v160
	;; [unrolled: 10-line block ×5, first 2 shown]
	v_fma_f16 v185, v105, s18, v184
	v_fma_f16 v184, v182, s16, v183
	v_add_f16_e32 v178, v184, v178
	v_mul_f16_sdwa v184, v182, s16 dst_sel:DWORD dst_unused:UNUSED_PAD src0_sel:WORD_1 src1_sel:DWORD
	v_fma_f16 v183, v182, s16, -v183
	v_add_f16_e32 v181, v183, v181
	v_fma_f16 v183, v105, s20, v184
	v_add_f16_e32 v179, v183, v179
	v_pk_add_f16 v183, v97, v102
	v_pk_add_f16 v102, v102, v97 neg_lo:[0,1] neg_hi:[0,1]
	v_add_f16_e32 v176, v185, v176
	v_fma_f16 v185, v105, s34, v184
	v_mul_f16_sdwa v184, v102, s20 dst_sel:DWORD dst_unused:UNUSED_PAD src0_sel:WORD_1 src1_sel:DWORD
	v_add_f16_e32 v180, v185, v180
	v_fma_f16 v185, v183, s16, v184
	v_add_f16_e32 v154, v185, v154
	v_mul_f16_sdwa v185, v183, s16 dst_sel:DWORD dst_unused:UNUSED_PAD src0_sel:WORD_1 src1_sel:DWORD
	v_fma_f16 v184, v183, s16, -v184
	v_add_f16_e32 v157, v184, v157
	v_fma_f16 v184, v102, s20, v185
	v_add_f16_e32 v155, v184, v155
	v_mul_f16_sdwa v184, v102, s31 dst_sel:DWORD dst_unused:UNUSED_PAD src0_sel:WORD_1 src1_sel:DWORD
	v_fma_f16 v186, v102, s34, v185
	v_fma_f16 v185, v183, s29, v184
	v_add_f16_e32 v158, v185, v158
	v_mul_f16_sdwa v185, v183, s29 dst_sel:DWORD dst_unused:UNUSED_PAD src0_sel:WORD_1 src1_sel:DWORD
	v_fma_f16 v184, v183, s29, -v184
	v_add_f16_e32 v161, v184, v161
	v_fma_f16 v184, v102, s31, v185
	v_add_f16_e32 v159, v184, v159
	v_mul_f16_sdwa v184, v102, s28 dst_sel:DWORD dst_unused:UNUSED_PAD src0_sel:WORD_1 src1_sel:DWORD
	v_add_f16_e32 v156, v186, v156
	v_fma_f16 v186, v102, s35, v185
	v_fma_f16 v185, v183, s19, v184
	v_add_f16_e32 v162, v185, v162
	v_mul_f16_sdwa v185, v183, s19 dst_sel:DWORD dst_unused:UNUSED_PAD src0_sel:WORD_1 src1_sel:DWORD
	v_fma_f16 v184, v183, s19, -v184
	v_add_f16_e32 v165, v184, v165
	v_fma_f16 v184, v102, s28, v185
	v_add_f16_e32 v163, v184, v163
	v_mul_f16_sdwa v184, v102, s18 dst_sel:DWORD dst_unused:UNUSED_PAD src0_sel:WORD_1 src1_sel:DWORD
	v_add_f16_e32 v160, v186, v160
	v_fma_f16 v186, v102, s22, v185
	v_fma_f16 v185, v183, s5, v184
	v_add_f16_e32 v166, v185, v166
	v_mul_f16_sdwa v185, v183, s5 dst_sel:DWORD dst_unused:UNUSED_PAD src0_sel:WORD_1 src1_sel:DWORD
	v_fma_f16 v184, v183, s5, -v184
	v_add_f16_e32 v169, v184, v169
	v_fma_f16 v184, v102, s18, v185
	v_add_f16_e32 v167, v184, v167
	v_mul_f16_sdwa v184, v102, s17 dst_sel:DWORD dst_unused:UNUSED_PAD src0_sel:WORD_1 src1_sel:DWORD
	v_add_f16_e32 v164, v186, v164
	v_fma_f16 v186, v102, s7, v185
	v_fma_f16 v185, v183, s14, v184
	v_add_f16_e32 v170, v185, v170
	v_mul_f16_sdwa v185, v183, s14 dst_sel:DWORD dst_unused:UNUSED_PAD src0_sel:WORD_1 src1_sel:DWORD
	v_fma_f16 v184, v183, s14, -v184
	v_add_f16_e32 v173, v184, v173
	v_fma_f16 v184, v102, s17, v185
	v_add_f16_e32 v171, v184, v171
	v_mul_f16_sdwa v184, v102, s26 dst_sel:DWORD dst_unused:UNUSED_PAD src0_sel:WORD_1 src1_sel:DWORD
	v_add_f16_e32 v168, v186, v168
	v_fma_f16 v186, v102, s23, v185
	v_fma_f16 v185, v183, s24, v184
	v_add_f16_e32 v174, v185, v174
	v_mul_f16_sdwa v185, v183, s24 dst_sel:DWORD dst_unused:UNUSED_PAD src0_sel:WORD_1 src1_sel:DWORD
	v_fma_f16 v184, v183, s24, -v184
	v_add_f16_e32 v177, v184, v177
	v_fma_f16 v184, v102, s26, v185
	v_add_f16_e32 v175, v184, v175
	v_mul_f16_sdwa v184, v102, s33 dst_sel:DWORD dst_unused:UNUSED_PAD src0_sel:WORD_1 src1_sel:DWORD
	v_add_f16_e32 v172, v186, v172
	v_fma_f16 v186, v102, s30, v185
	v_fma_f16 v185, v183, s21, v184
	v_add_f16_e32 v178, v185, v178
	v_mul_f16_sdwa v185, v183, s21 dst_sel:DWORD dst_unused:UNUSED_PAD src0_sel:WORD_1 src1_sel:DWORD
	v_fma_f16 v184, v183, s21, -v184
	v_add_f16_e32 v181, v184, v181
	v_fma_f16 v184, v102, s33, v185
	v_add_f16_e32 v179, v184, v179
	v_pk_add_f16 v184, v96, v103
	v_pk_add_f16 v96, v103, v96 neg_lo:[0,1] neg_hi:[0,1]
	v_add_f16_e32 v176, v186, v176
	v_mul_f16_sdwa v103, v96, s22 dst_sel:DWORD dst_unused:UNUSED_PAD src0_sel:WORD_1 src1_sel:DWORD
	v_fma_f16 v186, v102, s25, v185
	v_fma_f16 v185, v184, s19, v103
	v_add_f16_e32 v154, v185, v154
	v_mul_f16_sdwa v185, v184, s19 dst_sel:DWORD dst_unused:UNUSED_PAD src0_sel:WORD_1 src1_sel:DWORD
	v_fma_f16 v103, v184, s19, -v103
	v_add_f16_e32 v103, v103, v157
	v_fma_f16 v157, v96, s22, v185
	v_add_f16_e32 v155, v157, v155
	v_mul_f16_sdwa v157, v96, s30 dst_sel:DWORD dst_unused:UNUSED_PAD src0_sel:WORD_1 src1_sel:DWORD
	v_add_f16_e32 v180, v186, v180
	v_fma_f16 v186, v96, s28, v185
	v_fma_f16 v185, v184, s24, v157
	v_add_f16_e32 v158, v185, v158
	v_mul_f16_sdwa v185, v184, s24 dst_sel:DWORD dst_unused:UNUSED_PAD src0_sel:WORD_1 src1_sel:DWORD
	v_fma_f16 v157, v184, s24, -v157
	v_add_f16_e32 v157, v157, v161
	v_fma_f16 v161, v96, s30, v185
	v_add_f16_e32 v159, v161, v159
	v_mul_f16_sdwa v161, v96, s27 dst_sel:DWORD dst_unused:UNUSED_PAD src0_sel:WORD_1 src1_sel:DWORD
	v_add_f16_e32 v156, v186, v156
	;; [unrolled: 10-line block ×6, first 2 shown]
	v_fma_f16 v186, v96, s20, v185
	v_fma_f16 v185, v184, s5, v177
	v_add_f16_e32 v178, v185, v178
	v_mul_f16_sdwa v185, v184, s5 dst_sel:DWORD dst_unused:UNUSED_PAD src0_sel:WORD_1 src1_sel:DWORD
	v_fma_f16 v177, v184, s5, -v177
	v_add_f16_e32 v177, v177, v181
	v_fma_f16 v181, v96, s7, v185
	v_add_f16_e32 v179, v181, v179
	v_pk_add_f16 v181, v101, v98
	v_pk_add_f16 v98, v98, v101 neg_lo:[0,1] neg_hi:[0,1]
	v_add_f16_e32 v176, v186, v176
	v_mul_f16_sdwa v101, v98, s25 dst_sel:DWORD dst_unused:UNUSED_PAD src0_sel:WORD_1 src1_sel:DWORD
	v_fma_f16 v186, v96, s18, v185
	v_fma_f16 v185, v181, s21, v101
	v_add_f16_e32 v154, v185, v154
	v_mul_f16_sdwa v185, v181, s21 dst_sel:DWORD dst_unused:UNUSED_PAD src0_sel:WORD_1 src1_sel:DWORD
	v_fma_f16 v101, v181, s21, -v101
	v_add_f16_e32 v101, v101, v103
	v_fma_f16 v103, v98, s25, v185
	v_add_f16_e32 v103, v103, v155
	v_mul_f16_sdwa v155, v98, s28 dst_sel:DWORD dst_unused:UNUSED_PAD src0_sel:WORD_1 src1_sel:DWORD
	v_add_f16_e32 v180, v186, v180
	v_fma_f16 v186, v98, s33, v185
	v_fma_f16 v185, v181, s19, v155
	v_add_f16_e32 v158, v185, v158
	v_mul_f16_sdwa v185, v181, s19 dst_sel:DWORD dst_unused:UNUSED_PAD src0_sel:WORD_1 src1_sel:DWORD
	v_fma_f16 v155, v181, s19, -v155
	v_add_f16_e32 v155, v155, v157
	v_fma_f16 v157, v98, s28, v185
	v_add_f16_e32 v157, v157, v159
	v_mul_f16_sdwa v159, v98, s7 dst_sel:DWORD dst_unused:UNUSED_PAD src0_sel:WORD_1 src1_sel:DWORD
	v_add_f16_e32 v156, v186, v156
	;; [unrolled: 10-line block ×6, first 2 shown]
	v_fma_f16 v186, v98, s27, v185
	v_fma_f16 v185, v181, s29, v175
	v_add_f16_e32 v178, v185, v178
	v_mul_f16_sdwa v185, v181, s29 dst_sel:DWORD dst_unused:UNUSED_PAD src0_sel:WORD_1 src1_sel:DWORD
	v_fma_f16 v175, v181, s29, -v175
	v_add_f16_e32 v175, v175, v177
	v_fma_f16 v177, v98, s31, v185
	v_add_f16_e32 v177, v177, v179
	v_pk_add_f16 v179, v100, v99
	v_pk_add_f16 v99, v99, v100 neg_lo:[0,1] neg_hi:[0,1]
	v_add_f16_e32 v176, v186, v176
	v_mul_f16_sdwa v100, v99, s26 dst_sel:DWORD dst_unused:UNUSED_PAD src0_sel:WORD_1 src1_sel:DWORD
	v_fma_f16 v186, v98, s35, v185
	v_fma_f16 v185, v179, s24, v100
	v_add_f16_e32 v154, v185, v154
	v_mul_f16_sdwa v185, v179, s24 dst_sel:DWORD dst_unused:UNUSED_PAD src0_sel:WORD_1 src1_sel:DWORD
	v_fma_f16 v100, v179, s24, -v100
	v_add_f16_e32 v100, v100, v101
	v_fma_f16 v101, v99, s26, v185
	v_add_f16_e32 v101, v101, v103
	v_mul_f16_sdwa v103, v99, s23 dst_sel:DWORD dst_unused:UNUSED_PAD src0_sel:WORD_1 src1_sel:DWORD
	v_add_f16_e32 v180, v186, v180
	v_fma_f16 v186, v99, s30, v185
	v_fma_f16 v185, v179, s14, v103
	v_add_f16_e32 v158, v185, v158
	v_mul_f16_sdwa v185, v179, s14 dst_sel:DWORD dst_unused:UNUSED_PAD src0_sel:WORD_1 src1_sel:DWORD
	v_fma_f16 v103, v179, s14, -v103
	v_add_f16_e32 v103, v103, v155
	v_fma_f16 v155, v99, s23, v185
	v_add_f16_e32 v155, v155, v157
	v_mul_f16_sdwa v157, v99, s20 dst_sel:DWORD dst_unused:UNUSED_PAD src0_sel:WORD_1 src1_sel:DWORD
	v_add_f16_e32 v156, v186, v156
	v_fma_f16 v186, v99, s17, v185
	v_fma_f16 v185, v179, s16, v157
	v_add_f16_e32 v162, v185, v162
	v_mul_f16_sdwa v185, v179, s16 dst_sel:DWORD dst_unused:UNUSED_PAD src0_sel:WORD_1 src1_sel:DWORD
	v_fma_f16 v157, v179, s16, -v157
	v_add_f16_e32 v157, v157, v159
	v_fma_f16 v159, v99, s20, v185
	v_add_f16_e32 v159, v159, v161
	v_mul_f16_sdwa v161, v99, s33 dst_sel:DWORD dst_unused:UNUSED_PAD src0_sel:WORD_1 src1_sel:DWORD
	v_add_f16_e32 v160, v186, v160
	v_fma_f16 v186, v99, s34, v185
	v_fma_f16 v185, v179, s21, v161
	v_add_f16_e32 v166, v185, v166
	v_mul_f16_sdwa v185, v179, s21 dst_sel:DWORD dst_unused:UNUSED_PAD src0_sel:WORD_1 src1_sel:DWORD
	v_fma_f16 v161, v179, s21, -v161
	v_add_f16_e32 v161, v161, v163
	v_fma_f16 v163, v99, s33, v185
	v_add_f16_e32 v163, v163, v165
	v_mul_f16_sdwa v165, v99, s7 dst_sel:DWORD dst_unused:UNUSED_PAD src0_sel:WORD_1 src1_sel:DWORD
	v_add_f16_e32 v164, v186, v164
	v_fma_f16 v186, v99, s25, v185
	v_fma_f16 v185, v179, s5, v165
	v_add_f16_e32 v170, v185, v170
	v_mul_f16_sdwa v185, v179, s5 dst_sel:DWORD dst_unused:UNUSED_PAD src0_sel:WORD_1 src1_sel:DWORD
	v_fma_f16 v165, v179, s5, -v165
	v_add_f16_e32 v165, v165, v167
	v_fma_f16 v167, v99, s7, v185
	v_add_f16_e32 v167, v167, v169
	v_mul_f16_sdwa v169, v99, s31 dst_sel:DWORD dst_unused:UNUSED_PAD src0_sel:WORD_1 src1_sel:DWORD
	v_add_f16_e32 v168, v186, v168
	v_fma_f16 v186, v99, s18, v185
	v_fma_f16 v185, v179, s29, v169
	v_add_f16_e32 v174, v185, v174
	v_mul_f16_sdwa v185, v179, s29 dst_sel:DWORD dst_unused:UNUSED_PAD src0_sel:WORD_1 src1_sel:DWORD
	v_fma_f16 v169, v179, s29, -v169
	v_add_f16_e32 v169, v169, v171
	v_fma_f16 v171, v99, s31, v185
	v_add_f16_e32 v171, v171, v173
	v_mul_f16_sdwa v173, v99, s27 dst_sel:DWORD dst_unused:UNUSED_PAD src0_sel:WORD_1 src1_sel:DWORD
	v_add_f16_e32 v172, v186, v172
	v_fma_f16 v186, v99, s35, v185
	v_fma_f16 v185, v179, s6, v173
	v_add_f16_e32 v178, v185, v178
	v_mul_f16_sdwa v185, v179, s6 dst_sel:DWORD dst_unused:UNUSED_PAD src0_sel:WORD_1 src1_sel:DWORD
	v_fma_f16 v173, v179, s6, -v173
	v_add_f16_e32 v173, v173, v175
	v_fma_f16 v175, v99, s27, v185
	v_add_f16_e32 v175, v175, v177
	v_pk_add_f16 v177, v94, v95 neg_lo:[0,1] neg_hi:[0,1]
	v_pk_add_f16 v94, v95, v94
	v_pk_add_f16 v95, v152, v97
	v_add_f16_e32 v176, v186, v176
	v_pk_add_f16 v92, v95, v92
	v_fma_f16 v186, v99, s15, v185
	v_pk_mul_f16 v185, v177, s31 op_sel_hi:[1,0]
	v_pk_mul_f16 v95, v94, s29 op_sel_hi:[1,0]
	v_pk_add_f16 v92, v92, v93
	v_pk_fma_f16 v97, v94, s29, v185 op_sel:[0,0,1] op_sel_hi:[1,0,0]
	v_pk_fma_f16 v93, v94, s29, v185 op_sel:[0,0,1] op_sel_hi:[1,0,0] neg_lo:[0,0,1] neg_hi:[0,0,1]
	s_mov_b32 s4, 0xffff
	v_pk_add_f16 v25, v92, v25
	v_sub_f16_sdwa v92, v95, v185 dst_sel:DWORD dst_unused:UNUSED_PAD src0_sel:DWORD src1_sel:WORD_1
	v_add_f16_e32 v180, v186, v180
	v_mul_f16_sdwa v186, v177, s18 dst_sel:DWORD dst_unused:UNUSED_PAD src0_sel:WORD_1 src1_sel:DWORD
	v_bfi_b32 v93, s4, v97, v93
	v_pack_b32_f16 v97, v154, v156
	v_add_f16_e32 v92, v92, v100
	v_add_f16_sdwa v95, v185, v95 dst_sel:DWORD dst_unused:UNUSED_PAD src0_sel:DWORD src1_sel:WORD_1
	v_mul_f16_sdwa v100, v94, s5 dst_sel:DWORD dst_unused:UNUSED_PAD src0_sel:WORD_1 src1_sel:DWORD
	v_mul_f16_sdwa v187, v177, s26 dst_sel:DWORD dst_unused:UNUSED_PAD src0_sel:WORD_1 src1_sel:DWORD
	v_pk_add_f16 v93, v93, v97
	v_add_f16_e32 v95, v95, v101
	v_fma_f16 v97, v94, s5, v186
	v_fma_f16 v101, v177, s7, v100
	v_fma_f16 v152, v94, s5, -v186
	v_fma_f16 v100, v177, s18, v100
	v_mul_f16_sdwa v154, v94, s24 dst_sel:DWORD dst_unused:UNUSED_PAD src0_sel:WORD_1 src1_sel:DWORD
	v_mul_f16_sdwa v188, v177, s27 dst_sel:DWORD dst_unused:UNUSED_PAD src0_sel:WORD_1 src1_sel:DWORD
	v_add_f16_e32 v97, v97, v158
	v_add_f16_e32 v103, v152, v103
	;; [unrolled: 1-line block ×3, first 2 shown]
	v_fma_f16 v152, v94, s24, v187
	v_fma_f16 v155, v177, s30, v154
	v_fma_f16 v156, v94, s24, -v187
	v_fma_f16 v154, v177, s26, v154
	v_mul_f16_sdwa v158, v94, s6 dst_sel:DWORD dst_unused:UNUSED_PAD src0_sel:WORD_1 src1_sel:DWORD
	v_mul_f16_sdwa v189, v177, s25 dst_sel:DWORD dst_unused:UNUSED_PAD src0_sel:WORD_1 src1_sel:DWORD
	v_add_f16_e32 v101, v101, v160
	v_add_f16_e32 v152, v152, v162
	;; [unrolled: 1-line block ×4, first 2 shown]
	v_fma_f16 v157, v94, s6, v188
	v_fma_f16 v159, v177, s15, v158
	v_fma_f16 v160, v94, s6, -v188
	v_fma_f16 v158, v177, s27, v158
	v_mul_f16_sdwa v162, v94, s21 dst_sel:DWORD dst_unused:UNUSED_PAD src0_sel:WORD_1 src1_sel:DWORD
	v_mul_f16_sdwa v190, v177, s23 dst_sel:DWORD dst_unused:UNUSED_PAD src0_sel:WORD_1 src1_sel:DWORD
	v_add_f16_e32 v157, v157, v166
	v_add_f16_e32 v160, v160, v161
	;; [unrolled: 1-line block ×3, first 2 shown]
	v_fma_f16 v161, v94, s21, v189
	v_fma_f16 v163, v177, s33, v162
	v_fma_f16 v162, v177, s25, v162
	v_mul_f16_sdwa v166, v94, s14 dst_sel:DWORD dst_unused:UNUSED_PAD src0_sel:WORD_1 src1_sel:DWORD
	v_mul_f16_sdwa v191, v177, s22 dst_sel:DWORD dst_unused:UNUSED_PAD src0_sel:WORD_1 src1_sel:DWORD
	v_add_f16_e32 v155, v155, v164
	v_add_f16_e32 v159, v159, v168
	;; [unrolled: 1-line block ×3, first 2 shown]
	v_fma_f16 v164, v94, s21, -v189
	v_add_f16_e32 v162, v162, v167
	v_fma_f16 v167, v177, s17, v166
	v_fma_f16 v168, v94, s14, -v190
	v_fma_f16 v166, v177, s23, v166
	v_mul_f16_sdwa v170, v94, s19 dst_sel:DWORD dst_unused:UNUSED_PAD src0_sel:WORD_1 src1_sel:DWORD
	s_waitcnt lgkmcnt(0)
	; wave barrier
	v_add_f16_e32 v163, v163, v172
	v_add_f16_e32 v164, v164, v165
	v_fma_f16 v165, v94, s14, v190
	v_add_f16_e32 v168, v168, v169
	v_add_f16_e32 v166, v166, v171
	v_fma_f16 v169, v94, s19, v191
	v_fma_f16 v171, v177, s28, v170
	ds_write2_b32 v123, v25, v93 offset1:1
	v_pack_b32_f16 v25, v152, v155
	v_pack_b32_f16 v93, v97, v101
	v_add_f16_e32 v165, v165, v174
	v_add_f16_e32 v167, v167, v176
	;; [unrolled: 1-line block ×4, first 2 shown]
	ds_write2_b32 v123, v93, v25 offset0:2 offset1:3
	v_pack_b32_f16 v25, v161, v163
	v_pack_b32_f16 v93, v157, v159
	ds_write2_b32 v123, v93, v25 offset0:4 offset1:5
	v_pack_b32_f16 v25, v169, v171
	v_pack_b32_f16 v93, v165, v167
	ds_write2_b32 v123, v93, v25 offset0:6 offset1:7
	v_pk_mul_f16 v25, v91, s31 op_sel_hi:[1,0]
	v_fma_f16 v172, v94, s19, -v191
	v_pk_fma_f16 v91, v136, s29, v25 op_sel:[0,0,1] op_sel_hi:[1,0,0]
	v_pk_fma_f16 v25, v136, s29, v25 op_sel:[0,0,1] op_sel_hi:[1,0,0] neg_lo:[0,0,1] neg_hi:[0,0,1]
	v_pk_add_f16 v91, v90, v91
	v_pk_add_f16 v25, v90, v25
	v_pk_mul_f16 v90, v104, s18 op_sel_hi:[1,0]
	v_fma_f16 v170, v177, s22, v170
	v_pk_fma_f16 v93, v153, s5, v90 op_sel:[0,0,1] op_sel_hi:[1,0,0]
	v_pk_fma_f16 v90, v153, s5, v90 op_sel:[0,0,1] op_sel_hi:[1,0,0] neg_lo:[0,0,1] neg_hi:[0,0,1]
	v_pk_add_f16 v91, v93, v91
	v_pk_add_f16 v25, v90, v25
	v_pk_mul_f16 v90, v105, s26 op_sel_hi:[1,0]
	v_add_f16_e32 v172, v172, v173
	v_pk_fma_f16 v93, v182, s24, v90 op_sel:[0,0,1] op_sel_hi:[1,0,0]
	v_pk_fma_f16 v90, v182, s24, v90 op_sel:[0,0,1] op_sel_hi:[1,0,0] neg_lo:[0,0,1] neg_hi:[0,0,1]
	v_pk_add_f16 v91, v93, v91
	v_pk_add_f16 v25, v90, v25
	v_pk_mul_f16 v90, v102, s27 op_sel_hi:[1,0]
	v_add_f16_e32 v170, v170, v175
	v_pk_fma_f16 v93, v183, s6, v90 op_sel:[0,0,1] op_sel_hi:[1,0,0]
	v_pk_fma_f16 v90, v183, s6, v90 op_sel:[0,0,1] op_sel_hi:[1,0,0] neg_lo:[0,0,1] neg_hi:[0,0,1]
	v_pk_add_f16 v91, v93, v91
	v_pk_add_f16 v25, v90, v25
	v_pk_mul_f16 v90, v96, s25 op_sel_hi:[1,0]
	s_nop 0
	v_pk_fma_f16 v93, v184, s21, v90 op_sel:[0,0,1] op_sel_hi:[1,0,0]
	v_pk_fma_f16 v90, v184, s21, v90 op_sel:[0,0,1] op_sel_hi:[1,0,0] neg_lo:[0,0,1] neg_hi:[0,0,1]
	v_pk_add_f16 v91, v93, v91
	v_pk_add_f16 v25, v90, v25
	v_pk_mul_f16 v90, v98, s23 op_sel_hi:[1,0]
	s_nop 0
	v_pk_fma_f16 v93, v181, s14, v90 op_sel:[0,0,1] op_sel_hi:[1,0,0]
	v_pk_fma_f16 v90, v181, s14, v90 op_sel:[0,0,1] op_sel_hi:[1,0,0] neg_lo:[0,0,1] neg_hi:[0,0,1]
	v_pk_add_f16 v91, v93, v91
	v_pk_add_f16 v25, v90, v25
	v_pk_mul_f16 v90, v99, s22 op_sel_hi:[1,0]
	s_nop 0
	v_pk_fma_f16 v93, v179, s19, v90 op_sel:[0,0,1] op_sel_hi:[1,0,0]
	v_pk_fma_f16 v90, v179, s19, v90 op_sel:[0,0,1] op_sel_hi:[1,0,0] neg_lo:[0,0,1] neg_hi:[0,0,1]
	v_pk_add_f16 v91, v93, v91
	v_pk_add_f16 v25, v90, v25
	v_pk_mul_f16 v90, v177, s34 op_sel_hi:[1,0]
	s_nop 0
	v_pk_fma_f16 v93, v94, s16, v90 op_sel:[0,0,1] op_sel_hi:[1,0,0]
	v_pk_fma_f16 v90, v94, s16, v90 op_sel:[0,0,1] op_sel_hi:[1,0,0] neg_lo:[0,0,1] neg_hi:[0,0,1]
	v_pk_add_f16 v91, v93, v91
	v_pk_add_f16 v25, v90, v25
	s_nop 0
	v_bfi_b32 v90, s4, v25, v91
	v_bfi_b32 v25, s4, v91, v25
	ds_write2_b32 v123, v25, v90 offset0:8 offset1:9
	v_pack_b32_f16 v25, v168, v166
	v_pack_b32_f16 v90, v172, v170
	ds_write2_b32 v123, v90, v25 offset0:10 offset1:11
	v_pack_b32_f16 v25, v160, v158
	v_pack_b32_f16 v90, v164, v162
	;; [unrolled: 3-line block ×3, first 2 shown]
	ds_write2_b32 v123, v90, v25 offset0:14 offset1:15
	v_pack_b32_f16 v25, v92, v95
	ds_write_b32 v123, v25 offset:64
	s_and_saveexec_b64 s[0:1], vcc
	s_cbranch_execz .LBB0_13
; %bb.12:
	v_sub_f16_e32 v90, v75, v122
	v_mul_f16_e32 v155, 0xb836, v90
	v_add_f16_e32 v157, v121, v137
	v_sub_f16_e32 v91, v76, v89
	v_fma_f16 v25, v157, s24, v155
	v_mul_f16_e32 v156, 0x3b29, v91
	v_add_f16_e32 v158, v151, v138
	v_add_f16_e32 v25, v19, v25
	v_fma_f16 v92, v158, s14, v156
	v_add_f16_e32 v25, v92, v25
	v_sub_f16_e32 v92, v77, v88
	v_mul_f16_e32 v159, 0xbbf7, v92
	v_add_f16_e32 v160, v150, v139
	v_fma_f16 v93, v160, s16, v159
	v_add_f16_e32 v25, v93, v25
	v_sub_f16_e32 v93, v78, v87
	v_mul_f16_e32 v161, 0x3a62, v93
	;; [unrolled: 5-line block ×6, first 2 shown]
	v_add_f16_e32 v170, v145, v144
	v_fma_f16 v98, v170, s19, v169
	v_sub_f16_e32 v171, v137, v121
	v_add_f16_e32 v25, v98, v25
	v_add_f16_e32 v98, v122, v75
	v_mul_f16_e32 v172, 0xb836, v171
	v_fma_f16 v99, v98, s24, -v172
	v_sub_f16_e32 v173, v138, v151
	v_fma_f16 v155, v157, s24, -v155
	v_add_f16_e32 v100, v74, v99
	v_add_f16_e32 v99, v89, v76
	v_mul_f16_e32 v174, 0x3b29, v173
	v_add_f16_e32 v155, v19, v155
	v_fma_f16 v156, v158, s14, -v156
	v_fma_f16 v101, v99, s14, -v174
	v_sub_f16_e32 v175, v139, v150
	v_add_f16_e32 v155, v156, v155
	v_fma_f16 v156, v160, s16, -v159
	v_add_f16_e32 v100, v101, v100
	v_add_f16_e32 v101, v88, v77
	v_mul_f16_e32 v176, 0xbbf7, v175
	v_add_f16_e32 v155, v156, v155
	v_fma_f16 v156, v162, s21, -v161
	v_fma_f16 v102, v101, s16, -v176
	v_sub_f16_e32 v177, v140, v149
	v_add_f16_e32 v155, v156, v155
	;; [unrolled: 9-line block ×4, first 2 shown]
	v_fma_f16 v156, v98, s24, v172
	v_add_f16_e32 v100, v104, v100
	v_add_f16_e32 v104, v85, v80
	v_mul_f16_e32 v182, 0xb1e1, v181
	v_add_f16_e32 v156, v74, v156
	v_fma_f16 v159, v99, s14, v174
	v_fma_f16 v105, v104, s29, -v182
	v_sub_f16_e32 v183, v143, v146
	v_add_f16_e32 v156, v159, v156
	v_fma_f16 v159, v101, s16, v176
	v_add_f16_e32 v100, v105, v100
	v_add_f16_e32 v105, v84, v81
	v_mul_f16_e32 v184, 0x3964, v183
	v_add_f16_e32 v156, v159, v156
	v_fma_f16 v159, v102, s21, v178
	v_fma_f16 v123, v105, s6, -v184
	v_sub_f16_e32 v185, v144, v145
	v_add_f16_e32 v156, v159, v156
	v_fma_f16 v159, v103, s5, v180
	v_add_f16_e32 v100, v123, v100
	v_add_f16_e32 v123, v83, v82
	v_mul_f16_e32 v186, 0xbbb2, v185
	v_add_f16_e32 v156, v159, v156
	v_fma_f16 v159, v104, s29, v182
	v_fma_f16 v136, v123, s19, -v186
	v_mul_f16_e32 v153, 0xb1e1, v90
	v_add_f16_e32 v156, v159, v156
	v_fma_f16 v159, v105, s6, v184
	v_add_f16_e32 v100, v136, v100
	v_fma_f16 v136, v157, s29, v153
	v_mul_f16_e32 v154, 0x35c8, v91
	v_add_f16_e32 v156, v159, v156
	v_fma_f16 v159, v123, s19, v186
	v_add_f16_e32 v136, v19, v136
	v_fma_f16 v152, v158, s5, v154
	v_mul_f16_e32 v187, 0xb836, v92
	v_add_f16_e32 v156, v159, v156
	v_mul_f16_e32 v159, 0xb8d2, v157
	v_add_f16_e32 v136, v152, v136
	v_fma_f16 v152, v160, s24, v187
	v_mul_f16_e32 v188, 0x3964, v93
	v_fma_f16 v161, v90, s33, v159
	v_mul_f16_e32 v163, 0xb461, v158
	v_add_f16_e32 v136, v152, v136
	v_fma_f16 v152, v162, s6, v188
	v_mul_f16_e32 v189, 0xba62, v94
	v_add_f16_e32 v161, v19, v161
	v_fma_f16 v165, v91, s22, v163
	v_add_f16_e32 v136, v152, v136
	v_fma_f16 v152, v164, s21, v189
	v_mul_f16_e32 v190, 0x3b29, v95
	v_add_f16_e32 v161, v165, v161
	v_mul_f16_e32 v165, 0x3b76, v160
	v_add_f16_e32 v136, v152, v136
	v_fma_f16 v152, v166, s14, v190
	v_mul_f16_e32 v191, 0xbbb2, v96
	v_fma_f16 v167, v92, s18, v165
	v_add_f16_e32 v136, v152, v136
	v_fma_f16 v152, v168, s19, v191
	v_mul_f16_e32 v192, 0x3bf7, v97
	v_fma_f16 v153, v157, s29, -v153
	v_add_f16_e32 v161, v167, v161
	v_mul_f16_e32 v167, 0xbacd, v162
	v_add_f16_e32 v136, v152, v136
	v_fma_f16 v152, v170, s16, v192
	v_mul_f16_e32 v193, 0xb1e1, v171
	v_add_f16_e32 v153, v19, v153
	v_fma_f16 v154, v158, s5, -v154
	v_fma_f16 v169, v93, s30, v167
	v_add_f16_e32 v136, v152, v136
	v_fma_f16 v152, v98, s29, -v193
	v_mul_f16_e32 v194, 0x35c8, v173
	v_add_f16_e32 v153, v154, v153
	v_fma_f16 v154, v160, s24, -v187
	v_add_f16_e32 v161, v169, v161
	v_mul_f16_e32 v169, 0x2de8, v164
	v_add_f16_e32 v152, v74, v152
	v_fma_f16 v195, v99, s5, -v194
	v_add_f16_e32 v153, v154, v153
	v_fma_f16 v154, v162, s6, -v188
	v_fma_f16 v172, v94, s20, v169
	v_add_f16_e32 v152, v195, v152
	v_mul_f16_e32 v195, 0xb836, v175
	v_add_f16_e32 v153, v154, v153
	v_fma_f16 v154, v164, s21, -v189
	v_add_f16_e32 v161, v172, v161
	v_mul_f16_e32 v172, 0x39e9, v166
	v_fma_f16 v196, v101, s24, -v195
	v_add_f16_e32 v153, v154, v153
	v_fma_f16 v154, v166, s14, -v190
	v_fma_f16 v174, v95, s27, v172
	v_add_f16_e32 v152, v196, v152
	v_mul_f16_e32 v196, 0x3964, v177
	v_add_f16_e32 v153, v154, v153
	v_fma_f16 v154, v168, s19, -v191
	v_add_f16_e32 v161, v174, v161
	v_mul_f16_e32 v174, 0xbbdd, v168
	v_fma_f16 v197, v102, s6, -v196
	v_add_f16_e32 v153, v154, v153
	v_fma_f16 v154, v170, s16, -v192
	v_fma_f16 v176, v96, s35, v174
	v_add_f16_e32 v152, v197, v152
	v_mul_f16_e32 v197, 0xba62, v179
	v_add_f16_e32 v153, v154, v153
	v_fma_f16 v154, v98, s29, v193
	v_add_f16_e32 v161, v176, v161
	v_mul_f16_e32 v176, 0x3722, v170
	v_fma_f16 v198, v103, s21, -v197
	v_add_f16_e32 v154, v74, v154
	v_fma_f16 v187, v99, s5, v194
	v_fma_f16 v178, v97, s17, v176
	v_add_f16_e32 v152, v198, v152
	v_mul_f16_e32 v198, 0x3b29, v181
	v_add_f16_e32 v154, v187, v154
	v_fma_f16 v187, v101, s24, v195
	v_add_f16_e32 v161, v178, v161
	v_mul_f16_e32 v178, 0xba62, v171
	v_fma_f16 v199, v104, s14, -v198
	v_add_f16_e32 v154, v187, v154
	v_fma_f16 v187, v102, s6, v196
	v_fma_f16 v180, v98, s21, v178
	v_mul_f16_e32 v182, 0x3bb2, v173
	v_add_f16_e32 v152, v199, v152
	v_mul_f16_e32 v199, 0xbbb2, v183
	v_add_f16_e32 v154, v187, v154
	v_fma_f16 v187, v103, s21, v197
	v_add_f16_e32 v180, v74, v180
	v_fma_f16 v184, v99, s19, v182
	v_fma_f16 v200, v105, s19, -v199
	v_add_f16_e32 v154, v187, v154
	v_fma_f16 v187, v104, s14, v198
	v_add_f16_e32 v180, v184, v180
	v_mul_f16_e32 v184, 0xb5c8, v175
	v_add_f16_e32 v152, v200, v152
	v_mul_f16_e32 v200, 0x3bf7, v185
	v_add_f16_e32 v154, v187, v154
	v_fma_f16 v187, v105, s19, v199
	v_fma_f16 v186, v101, s5, v184
	v_add_f16_e32 v154, v187, v154
	v_fma_f16 v187, v123, s16, v200
	v_add_f16_e32 v180, v186, v180
	v_mul_f16_e32 v186, 0xb836, v177
	v_add_f16_e32 v154, v187, v154
	v_fma_f16 v187, v102, s24, v186
	v_add_f16_e32 v180, v187, v180
	v_mul_f16_e32 v187, 0x3bf7, v179
	v_fma_f16 v188, v103, s16, v187
	v_add_f16_e32 v180, v188, v180
	v_mul_f16_e32 v188, 0xb964, v181
	;; [unrolled: 3-line block ×5, first 2 shown]
	v_fma_f16 v192, v90, s28, v191
	v_mul_f16_e32 v193, 0xbacd, v158
	v_add_f16_e32 v192, v19, v192
	v_fma_f16 v194, v91, s26, v193
	v_add_f16_e32 v192, v194, v192
	v_mul_f16_e32 v194, 0x39e9, v160
	v_fma_f16 v195, v92, s15, v194
	v_add_f16_e32 v192, v195, v192
	v_mul_f16_e32 v195, 0x3722, v162
	;; [unrolled: 3-line block ×6, first 2 shown]
	v_fma_f16 v201, v123, s16, -v200
	v_fma_f16 v200, v97, s33, v199
	v_add_f16_e32 v192, v200, v192
	v_mul_f16_e32 v200, 0xbbb2, v171
	v_add_f16_e32 v152, v201, v152
	v_fma_f16 v201, v98, s19, v200
	v_mul_f16_e32 v202, 0x3836, v173
	v_add_f16_e32 v201, v74, v201
	v_fma_f16 v203, v99, s24, v202
	v_add_f16_e32 v201, v203, v201
	v_mul_f16_e32 v203, 0x3964, v175
	v_fma_f16 v204, v101, s6, v203
	v_add_f16_e32 v201, v204, v201
	v_mul_f16_e32 v204, 0xbb29, v177
	v_accvgpr_write_b32 a0, v205
	v_fma_f16 v205, v102, s14, v204
	v_add_f16_e32 v201, v205, v201
	v_mul_f16_e32 v205, 0xb1e1, v179
	v_accvgpr_write_b32 a1, v206
	;; [unrolled: 4-line block ×6, first 2 shown]
	v_fma_f16 v210, v90, s34, v209
	v_accvgpr_write_b32 a6, v211
	v_mul_f16_e32 v211, 0xbbdd, v158
	v_add_f16_e32 v210, v19, v210
	v_accvgpr_write_b32 a7, v212
	v_fma_f16 v212, v91, s35, v211
	v_add_f16_e32 v210, v212, v210
	v_mul_f16_e32 v212, 0xb461, v160
	v_accvgpr_write_b32 a8, v213
	v_fma_f16 v213, v92, s22, v212
	v_add_f16_e32 v210, v213, v210
	v_mul_f16_e32 v213, 0x3b76, v162
	;; [unrolled: 4-line block ×3, first 2 shown]
	v_fma_f16 v215, v94, s23, v214
	v_add_f16_e32 v210, v215, v210
	v_mul_f16_e32 v215, 0xbacd, v166
	v_fma_f16 v216, v95, s30, v215
	v_add_f16_e32 v210, v216, v210
	v_mul_f16_e32 v216, 0xb8d2, v168
	;; [unrolled: 3-line block ×4, first 2 shown]
	v_fma_f16 v219, v98, s16, v218
	v_mul_f16_e32 v220, 0xb1e1, v173
	v_add_f16_e32 v219, v74, v219
	v_fma_f16 v221, v99, s29, v220
	v_add_f16_e32 v219, v221, v219
	v_mul_f16_e32 v221, 0x3bb2, v175
	v_fma_f16 v222, v101, s19, v221
	v_add_f16_e32 v219, v222, v219
	v_mul_f16_e32 v222, 0x35c8, v177
	;; [unrolled: 3-line block ×3, first 2 shown]
	v_fma_f16 v224, v103, s14, v223
	v_add_f16_e32 v75, v75, v74
	v_add_f16_e32 v219, v224, v219
	v_mul_f16_e32 v224, 0xb836, v181
	v_add_f16_e32 v75, v76, v75
	v_fma_f16 v225, v104, s24, v224
	v_add_f16_e32 v75, v77, v75
	v_fma_f16 v77, v90, s25, v159
	v_add_f16_e32 v219, v225, v219
	v_mul_f16_e32 v225, 0x3a62, v183
	v_add_f16_e32 v75, v78, v75
	v_add_f16_e32 v77, v19, v77
	v_fma_f16 v78, v91, s28, v163
	v_fma_f16 v226, v105, s21, v225
	v_add_f16_e32 v77, v78, v77
	v_fma_f16 v78, v92, s7, v165
	v_add_f16_e32 v219, v226, v219
	v_mul_f16_e32 v226, 0x3964, v185
	v_add_f16_e32 v77, v78, v77
	v_fma_f16 v78, v93, s26, v167
	v_fma_f16 v227, v123, s6, v226
	v_add_f16_e32 v77, v78, v77
	v_fma_f16 v78, v94, s34, v169
	v_add_f16_e32 v219, v227, v219
	v_mul_f16_e32 v227, 0x3722, v157
	v_add_f16_e32 v77, v78, v77
	v_fma_f16 v78, v95, s15, v172
	v_fma_f16 v228, v90, s23, v227
	v_mul_f16_e32 v229, 0xb8d2, v158
	v_add_f16_e32 v77, v78, v77
	v_fma_f16 v78, v96, s31, v174
	v_add_f16_e32 v228, v19, v228
	v_fma_f16 v230, v91, s33, v229
	;; [unrolled: 2-line block ×3, first 2 shown]
	v_add_f16_e32 v228, v230, v228
	v_mul_f16_e32 v230, 0xbbdd, v160
	v_add_f16_e32 v77, v78, v77
	v_fma_f16 v78, v98, s21, -v178
	v_fma_f16 v231, v92, s31, v230
	v_add_f16_e32 v75, v79, v75
	v_add_f16_e32 v78, v74, v78
	v_fma_f16 v79, v99, s19, -v182
	v_add_f16_e32 v228, v231, v228
	v_mul_f16_e32 v231, 0xb461, v162
	v_add_f16_e32 v78, v79, v78
	v_fma_f16 v79, v101, s5, -v184
	v_fma_f16 v232, v93, s22, v231
	v_add_f16_e32 v78, v79, v78
	v_fma_f16 v79, v102, s24, -v186
	v_add_f16_e32 v228, v232, v228
	v_mul_f16_e32 v232, 0x39e9, v164
	v_add_f16_e32 v78, v79, v78
	v_fma_f16 v79, v103, s16, -v187
	v_fma_f16 v233, v94, s15, v232
	;; [unrolled: 7-line block ×3, first 2 shown]
	v_add_f16_e32 v78, v79, v78
	v_fma_f16 v79, v123, s14, -v190
	v_add_f16_e32 v228, v234, v228
	v_mul_f16_e32 v234, 0x2de8, v168
	v_add_f16_e32 v78, v79, v78
	v_fma_f16 v79, v90, s22, v191
	v_fma_f16 v235, v96, s34, v234
	v_add_f16_e32 v75, v80, v75
	v_add_f16_e32 v79, v19, v79
	v_fma_f16 v80, v91, s30, v193
	v_add_f16_e32 v228, v235, v228
	v_mul_f16_e32 v235, 0xbacd, v170
	v_add_f16_e32 v79, v80, v79
	v_fma_f16 v80, v92, s27, v194
	v_fma_f16 v236, v97, s30, v235
	v_add_f16_e32 v79, v80, v79
	v_fma_f16 v80, v93, s17, v195
	v_add_f16_e32 v228, v236, v228
	v_mul_f16_e32 v236, 0xbb29, v171
	v_add_f16_e32 v79, v80, v79
	v_fma_f16 v80, v94, s31, v196
	v_fma_f16 v237, v98, s14, v236
	v_mul_f16_e32 v238, 0xba62, v173
	v_add_f16_e32 v79, v80, v79
	v_fma_f16 v80, v95, s34, v197
	v_add_f16_e32 v237, v74, v237
	v_fma_f16 v239, v99, s21, v238
	;; [unrolled: 2-line block ×3, first 2 shown]
	v_add_f16_e32 v237, v239, v237
	v_mul_f16_e32 v239, 0x31e1, v175
	v_add_f16_e32 v79, v80, v79
	v_fma_f16 v80, v97, s25, v199
	v_fma_f16 v240, v101, s29, v239
	v_add_f16_e32 v79, v80, v79
	v_fma_f16 v80, v98, s19, -v200
	v_add_f16_e32 v237, v240, v237
	v_mul_f16_e32 v240, 0x3bb2, v177
	v_add_f16_e32 v75, v81, v75
	v_add_f16_e32 v80, v74, v80
	v_fma_f16 v81, v99, s24, -v202
	v_fma_f16 v241, v102, s19, v240
	v_add_f16_e32 v80, v81, v80
	v_fma_f16 v81, v101, s6, -v203
	v_add_f16_e32 v237, v241, v237
	v_mul_f16_e32 v241, 0x3964, v179
	v_add_f16_e32 v80, v81, v80
	v_fma_f16 v81, v102, s14, -v204
	v_fma_f16 v242, v103, s6, v241
	v_add_f16_e32 v80, v81, v80
	v_fma_f16 v81, v103, s29, -v205
	v_add_f16_e32 v237, v242, v237
	v_mul_f16_e32 v242, 0xb5c8, v181
	v_add_f16_e32 v80, v81, v80
	v_fma_f16 v81, v104, s16, -v206
	v_fma_f16 v243, v104, s5, v242
	v_add_f16_e32 v80, v81, v80
	v_fma_f16 v81, v105, s5, -v207
	v_add_f16_e32 v237, v243, v237
	v_mul_f16_e32 v243, 0xbbf7, v183
	v_add_f16_e32 v80, v81, v80
	v_fma_f16 v81, v123, s21, -v208
	v_fma_f16 v244, v105, s16, v243
	v_add_f16_e32 v80, v81, v80
	v_fma_f16 v81, v90, s20, v209
	v_add_f16_e32 v237, v244, v237
	v_mul_f16_e32 v244, 0xb836, v185
	v_add_f16_e32 v75, v82, v75
	v_add_f16_e32 v81, v19, v81
	v_fma_f16 v82, v91, s31, v211
	v_fma_f16 v245, v123, s24, v244
	v_add_f16_e32 v81, v82, v81
	v_fma_f16 v82, v92, s28, v212
	v_add_f16_e32 v237, v245, v237
	v_mul_f16_e32 v245, 0x39e9, v157
	v_add_f16_e32 v81, v82, v81
	v_fma_f16 v82, v93, s18, v213
	v_fma_f16 v246, v90, s27, v245
	v_mul_f16_e32 v247, 0x2de8, v158
	v_add_f16_e32 v81, v82, v81
	v_fma_f16 v82, v94, s17, v214
	v_add_f16_e32 v246, v19, v246
	v_fma_f16 v248, v91, s34, v247
	;; [unrolled: 2-line block ×3, first 2 shown]
	v_add_f16_e32 v246, v248, v246
	v_mul_f16_e32 v248, 0xb8d2, v160
	v_add_f16_e32 v81, v82, v81
	v_fma_f16 v82, v96, s33, v216
	v_fma_f16 v249, v92, s33, v248
	v_add_f16_e32 v81, v82, v81
	v_fma_f16 v82, v97, s27, v217
	v_add_f16_e32 v246, v249, v246
	v_mul_f16_e32 v249, 0xbbdd, v162
	v_add_f16_e32 v81, v82, v81
	v_fma_f16 v82, v98, s16, -v218
	v_fma_f16 v250, v93, s35, v249
	v_add_f16_e32 v75, v83, v75
	v_add_f16_e32 v82, v74, v82
	v_fma_f16 v83, v99, s29, -v220
	v_add_f16_e32 v246, v250, v246
	v_mul_f16_e32 v250, 0xbacd, v164
	v_add_f16_e32 v82, v83, v82
	v_fma_f16 v83, v101, s19, -v221
	v_fma_f16 v251, v94, s26, v250
	v_add_f16_e32 v82, v83, v82
	v_fma_f16 v83, v102, s5, -v222
	v_add_f16_e32 v246, v251, v246
	v_mul_f16_e32 v251, 0xb461, v166
	v_add_f16_e32 v82, v83, v82
	v_fma_f16 v83, v103, s14, -v223
	v_fma_f16 v252, v95, s22, v251
	;; [unrolled: 7-line block ×3, first 2 shown]
	v_add_f16_e32 v82, v83, v82
	v_fma_f16 v83, v123, s6, -v226
	v_add_f16_e32 v246, v253, v246
	v_mul_f16_e32 v253, 0x3b76, v170
	v_add_f16_e32 v82, v83, v82
	v_fma_f16 v83, v90, s17, v227
	v_fma_f16 v254, v97, s7, v253
	v_add_f16_e32 v75, v84, v75
	v_add_f16_e32 v83, v19, v83
	v_fma_f16 v84, v91, s25, v229
	v_add_f16_e32 v246, v254, v246
	v_mul_f16_e32 v254, 0xb964, v171
	v_add_f16_e32 v83, v84, v83
	v_fma_f16 v84, v92, s35, v230
	v_fma_f16 v255, v98, s6, v254
	v_mul_f16_e32 v124, 0xbbf7, v173
	v_add_f16_e32 v83, v84, v83
	v_fma_f16 v84, v93, s28, v231
	v_add_f16_e32 v255, v74, v255
	v_fma_f16 v125, v99, s16, v124
	;; [unrolled: 2-line block ×3, first 2 shown]
	v_add_f16_e32 v125, v125, v255
	v_mul_f16_e32 v255, 0xba62, v175
	v_add_f16_e32 v83, v84, v83
	v_fma_f16 v84, v95, s7, v233
	v_fma_f16 v126, v101, s21, v255
	v_add_f16_e32 v83, v84, v83
	v_fma_f16 v84, v96, s20, v234
	v_add_f16_e32 v125, v126, v125
	v_mul_f16_e32 v126, 0xb1e1, v177
	v_add_f16_e32 v83, v84, v83
	v_fma_f16 v84, v97, s26, v235
	v_fma_f16 v127, v102, s29, v126
	v_add_f16_e32 v83, v84, v83
	v_fma_f16 v84, v98, s14, -v236
	v_add_f16_e32 v125, v127, v125
	v_mul_f16_e32 v127, 0x3836, v179
	v_add_f16_e32 v75, v85, v75
	v_add_f16_e32 v84, v74, v84
	v_fma_f16 v85, v99, s21, -v238
	v_fma_f16 v128, v103, s24, v127
	v_add_f16_e32 v84, v85, v84
	v_fma_f16 v85, v101, s29, -v239
	v_add_f16_e32 v125, v128, v125
	v_mul_f16_e32 v128, 0x3bb2, v181
	v_add_f16_e32 v84, v85, v84
	v_fma_f16 v85, v102, s19, -v240
	v_fma_f16 v129, v104, s19, v128
	v_add_f16_e32 v84, v85, v84
	v_fma_f16 v85, v103, s6, -v241
	v_add_f16_e32 v125, v129, v125
	v_mul_f16_e32 v129, 0x3b29, v183
	;; [unrolled: 7-line block ×3, first 2 shown]
	v_add_f16_e32 v84, v85, v84
	v_fma_f16 v85, v123, s24, -v244
	v_fma_f16 v131, v123, s5, v130
	v_add_f16_e32 v84, v85, v84
	v_fma_f16 v85, v90, s15, v245
	v_add_f16_e32 v125, v131, v125
	v_mul_f16_e32 v131, 0x3b76, v157
	v_add_f16_e32 v75, v86, v75
	v_add_f16_e32 v85, v19, v85
	v_fma_f16 v86, v91, s20, v247
	v_fma_f16 v157, v90, s18, v131
	v_mul_f16_e32 v158, 0x39e9, v158
	v_add_f16_e32 v85, v86, v85
	v_fma_f16 v86, v92, s25, v248
	v_add_f16_e32 v157, v19, v157
	v_fma_f16 v132, v91, s27, v158
	;; [unrolled: 2-line block ×3, first 2 shown]
	v_add_f16_e32 v132, v132, v157
	v_mul_f16_e32 v157, 0x3722, v160
	v_add_f16_e32 v85, v86, v85
	v_fma_f16 v86, v94, s30, v250
	v_fma_f16 v160, v92, s23, v157
	v_add_f16_e32 v85, v86, v85
	v_fma_f16 v86, v95, s28, v251
	v_add_f16_e32 v132, v160, v132
	v_mul_f16_e32 v160, 0x2de8, v162
	v_add_f16_e32 v85, v86, v85
	v_fma_f16 v86, v96, s23, v252
	v_fma_f16 v162, v93, s34, v160
	v_add_f16_e32 v85, v86, v85
	v_fma_f16 v86, v97, s18, v253
	v_add_f16_e32 v132, v162, v132
	v_mul_f16_e32 v162, 0xb461, v164
	v_add_f16_e32 v85, v86, v85
	v_fma_f16 v86, v98, s6, -v254
	v_fma_f16 v164, v94, s28, v162
	v_add_f16_e32 v75, v87, v75
	v_add_f16_e32 v86, v74, v86
	v_fma_f16 v87, v99, s16, -v124
	v_add_f16_e32 v132, v164, v132
	v_mul_f16_e32 v164, 0xb8d2, v166
	v_add_f16_e32 v86, v87, v86
	v_fma_f16 v87, v101, s21, -v255
	v_fma_f16 v166, v95, s33, v164
	v_add_f16_e32 v86, v87, v86
	v_fma_f16 v87, v102, s29, -v126
	v_add_f16_e32 v132, v166, v132
	v_mul_f16_e32 v166, 0xbacd, v168
	v_add_f16_e32 v86, v87, v86
	v_fma_f16 v87, v103, s24, -v127
	v_fma_f16 v168, v96, s30, v166
	;; [unrolled: 7-line block ×3, first 2 shown]
	v_add_f16_e32 v86, v87, v86
	v_fma_f16 v87, v123, s5, -v130
	v_add_f16_e32 v132, v170, v132
	v_mul_f16_e32 v170, 0xb5c8, v171
	v_add_f16_e32 v76, v137, v19
	v_add_f16_e32 v86, v87, v86
	v_fma_f16 v87, v90, s7, v131
	v_fma_f16 v171, v98, s5, v170
	v_mul_f16_e32 v173, 0xb964, v173
	v_add_f16_e32 v76, v138, v76
	v_add_f16_e32 v19, v19, v87
	v_fma_f16 v87, v91, s15, v158
	v_add_f16_e32 v171, v74, v171
	v_fma_f16 v133, v99, s6, v173
	v_add_f16_e32 v76, v139, v76
	v_add_f16_e32 v19, v87, v19
	v_fma_f16 v87, v92, s17, v157
	v_add_f16_e32 v133, v133, v171
	v_mul_f16_e32 v171, 0xbb29, v175
	v_add_f16_e32 v76, v140, v76
	v_add_f16_e32 v19, v87, v19
	v_fma_f16 v87, v93, s20, v160
	v_fma_f16 v175, v101, s14, v171
	v_add_f16_e32 v76, v141, v76
	v_add_f16_e32 v19, v87, v19
	v_fma_f16 v87, v94, s22, v162
	v_add_f16_e32 v133, v175, v133
	v_mul_f16_e32 v175, 0xbbf7, v177
	v_add_f16_e32 v76, v142, v76
	v_add_f16_e32 v19, v87, v19
	v_fma_f16 v87, v95, s25, v164
	;; [unrolled: 9-line block ×3, first 2 shown]
	v_fma_f16 v179, v103, s19, v177
	v_add_f16_e32 v76, v145, v76
	v_add_f16_e32 v19, v87, v19
	v_fma_f16 v87, v98, s5, -v170
	v_add_f16_e32 v133, v179, v133
	v_mul_f16_e32 v179, 0xba62, v181
	v_add_f16_e32 v76, v146, v76
	v_add_f16_e32 v74, v74, v87
	v_fma_f16 v87, v99, s6, -v173
	v_fma_f16 v181, v104, s21, v179
	v_add_f16_e32 v76, v147, v76
	v_add_f16_e32 v74, v87, v74
	v_fma_f16 v87, v101, s14, -v171
	v_add_f16_e32 v133, v181, v133
	v_mul_f16_e32 v181, 0xb836, v183
	v_add_f16_e32 v76, v148, v76
	v_add_f16_e32 v74, v87, v74
	v_fma_f16 v87, v102, s16, -v175
	v_fma_f16 v183, v105, s24, v181
	v_add_f16_e32 v76, v149, v76
	v_add_f16_e32 v74, v87, v74
	v_fma_f16 v87, v103, s19, -v177
	v_add_f16_e32 v133, v183, v133
	v_mul_f16_e32 v183, 0xb1e1, v185
	v_add_f16_e32 v75, v88, v75
	v_add_f16_e32 v76, v150, v76
	;; [unrolled: 1-line block ×3, first 2 shown]
	v_fma_f16 v87, v104, s21, -v179
	v_fma_f16 v185, v123, s29, v183
	v_add_f16_e32 v75, v89, v75
	v_add_f16_e32 v76, v151, v76
	;; [unrolled: 1-line block ×3, first 2 shown]
	v_fma_f16 v87, v105, s24, -v181
	v_add_f16_e32 v133, v185, v133
	v_add_f16_e32 v75, v122, v75
	;; [unrolled: 1-line block ×4, first 2 shown]
	v_fma_f16 v87, v123, s29, -v183
	v_mul_u32_u24_e32 v24, 17, v24
	v_add_f16_e32 v74, v87, v74
	v_lshlrev_b32_e32 v24, 2, v24
	v_pack_b32_f16 v87, v133, v132
	v_pack_b32_f16 v75, v75, v76
	ds_write2_b32 v24, v75, v87 offset1:1
	v_pack_b32_f16 v75, v237, v228
	v_pack_b32_f16 v76, v125, v246
	ds_write2_b32 v24, v76, v75 offset0:2 offset1:3
	v_pack_b32_f16 v75, v201, v192
	v_pack_b32_f16 v76, v219, v210
	ds_write2_b32 v24, v76, v75 offset0:4 offset1:5
	;; [unrolled: 3-line block ×5, first 2 shown]
	v_pack_b32_f16 v25, v82, v81
	v_pack_b32_f16 v75, v80, v79
	v_accvgpr_read_b32 v205, a0
	v_accvgpr_read_b32 v206, a1
	;; [unrolled: 1-line block ×10, first 2 shown]
	ds_write2_b32 v24, v75, v25 offset0:12 offset1:13
	v_pack_b32_f16 v25, v86, v85
	v_pack_b32_f16 v75, v84, v83
	v_pack_b32_f16 v19, v74, v19
	ds_write2_b32 v24, v75, v25 offset0:14 offset1:15
	ds_write_b32 v24, v19 offset:64
.LBB0_13:
	s_or_b64 exec, exec, s[0:1]
	v_add_u32_e32 v77, 0x600, v16
	s_waitcnt lgkmcnt(0)
	; wave barrier
	s_waitcnt lgkmcnt(0)
	ds_read2_b32 v[24:25], v77 offset0:126 offset1:177
	v_add_u32_e32 v74, 0x1000, v16
	ds_read2_b32 v[84:85], v74 offset0:98 offset1:149
	v_add_u32_e32 v76, 0x800, v16
	ds_read2_b32 v[86:87], v76 offset0:100 offset1:151
	s_waitcnt lgkmcnt(2)
	v_lshrrev_b32_e32 v121, 16, v25
	v_mul_f16_sdwa v162, v26, v121 dst_sel:DWORD dst_unused:UNUSED_PAD src0_sel:WORD_1 src1_sel:DWORD
	s_waitcnt lgkmcnt(1)
	v_lshrrev_b32_e32 v124, 16, v84
	v_fma_f16 v162, v26, v25, v162
	v_mul_f16_sdwa v25, v26, v25 dst_sel:DWORD dst_unused:UNUSED_PAD src0_sel:WORD_1 src1_sel:DWORD
	v_fma_f16 v25, v26, v121, -v25
	v_mul_f16_sdwa v26, v27, v124 dst_sel:DWORD dst_unused:UNUSED_PAD src0_sel:WORD_1 src1_sel:DWORD
	s_waitcnt lgkmcnt(0)
	v_lshrrev_b32_e32 v126, 16, v86
	v_fma_f16 v26, v27, v84, v26
	v_mul_f16_sdwa v84, v27, v84 dst_sel:DWORD dst_unused:UNUSED_PAD src0_sel:WORD_1 src1_sel:DWORD
	ds_read2_b32 v[90:91], v74 offset0:200 offset1:251
	v_fma_f16 v27, v27, v124, -v84
	v_mul_f16_sdwa v84, v28, v126 dst_sel:DWORD dst_unused:UNUSED_PAD src0_sel:WORD_1 src1_sel:DWORD
	v_lshrrev_b32_e32 v127, 16, v85
	v_fma_f16 v84, v28, v86, v84
	v_mul_f16_sdwa v86, v28, v86 dst_sel:DWORD dst_unused:UNUSED_PAD src0_sel:WORD_1 src1_sel:DWORD
	ds_read2_b32 v[92:93], v76 offset0:202 offset1:253
	v_fma_f16 v28, v28, v126, -v86
	v_mul_f16_sdwa v86, v29, v127 dst_sel:DWORD dst_unused:UNUSED_PAD src0_sel:WORD_1 src1_sel:DWORD
	v_lshrrev_b32_e32 v129, 16, v87
	v_fma_f16 v86, v29, v85, v86
	v_mul_f16_sdwa v85, v29, v85 dst_sel:DWORD dst_unused:UNUSED_PAD src0_sel:WORD_1 src1_sel:DWORD
	v_fma_f16 v29, v29, v127, -v85
	v_mul_f16_sdwa v85, v30, v129 dst_sel:DWORD dst_unused:UNUSED_PAD src0_sel:WORD_1 src1_sel:DWORD
	s_waitcnt lgkmcnt(1)
	v_lshrrev_b32_e32 v130, 16, v90
	v_fma_f16 v85, v30, v87, v85
	v_mul_f16_sdwa v87, v30, v87 dst_sel:DWORD dst_unused:UNUSED_PAD src0_sel:WORD_1 src1_sel:DWORD
	v_fma_f16 v30, v30, v129, -v87
	v_mul_f16_sdwa v87, v31, v130 dst_sel:DWORD dst_unused:UNUSED_PAD src0_sel:WORD_1 src1_sel:DWORD
	s_waitcnt lgkmcnt(0)
	v_lshrrev_b32_e32 v132, 16, v92
	v_add_u32_e32 v78, 0x1400, v16
	v_fma_f16 v87, v31, v90, v87
	v_mul_f16_sdwa v90, v31, v90 dst_sel:DWORD dst_unused:UNUSED_PAD src0_sel:WORD_1 src1_sel:DWORD
	ds_read2_b32 v[96:97], v78 offset0:46 offset1:97
	v_fma_f16 v31, v31, v130, -v90
	v_mul_f16_sdwa v90, v32, v132 dst_sel:DWORD dst_unused:UNUSED_PAD src0_sel:WORD_1 src1_sel:DWORD
	v_lshrrev_b32_e32 v133, 16, v91
	v_add_u32_e32 v75, 0xc00, v16
	v_fma_f16 v90, v32, v92, v90
	v_mul_f16_sdwa v92, v32, v92 dst_sel:DWORD dst_unused:UNUSED_PAD src0_sel:WORD_1 src1_sel:DWORD
	ds_read2_b32 v[98:99], v75 offset0:48 offset1:99
	v_fma_f16 v32, v32, v132, -v92
	v_mul_f16_sdwa v92, v33, v133 dst_sel:DWORD dst_unused:UNUSED_PAD src0_sel:WORD_1 src1_sel:DWORD
	v_lshrrev_b32_e32 v141, 16, v93
	v_fma_f16 v92, v33, v91, v92
	v_mul_f16_sdwa v91, v33, v91 dst_sel:DWORD dst_unused:UNUSED_PAD src0_sel:WORD_1 src1_sel:DWORD
	v_fma_f16 v33, v33, v133, -v91
	v_mul_f16_sdwa v91, v34, v141 dst_sel:DWORD dst_unused:UNUSED_PAD src0_sel:WORD_1 src1_sel:DWORD
	s_waitcnt lgkmcnt(1)
	v_lshrrev_b32_e32 v142, 16, v96
	v_fma_f16 v91, v34, v93, v91
	v_mul_f16_sdwa v93, v34, v93 dst_sel:DWORD dst_unused:UNUSED_PAD src0_sel:WORD_1 src1_sel:DWORD
	v_fma_f16 v34, v34, v141, -v93
	v_mul_f16_sdwa v93, v35, v142 dst_sel:DWORD dst_unused:UNUSED_PAD src0_sel:WORD_1 src1_sel:DWORD
	s_waitcnt lgkmcnt(0)
	v_lshrrev_b32_e32 v144, 16, v98
	v_fma_f16 v93, v35, v96, v93
	v_mul_f16_sdwa v96, v35, v96 dst_sel:DWORD dst_unused:UNUSED_PAD src0_sel:WORD_1 src1_sel:DWORD
	ds_read2_b32 v[102:103], v78 offset0:148 offset1:199
	v_fma_f16 v35, v35, v142, -v96
	v_mul_f16_sdwa v96, v36, v144 dst_sel:DWORD dst_unused:UNUSED_PAD src0_sel:WORD_1 src1_sel:DWORD
	v_lshrrev_b32_e32 v145, 16, v97
	v_fma_f16 v96, v36, v98, v96
	v_mul_f16_sdwa v98, v36, v98 dst_sel:DWORD dst_unused:UNUSED_PAD src0_sel:WORD_1 src1_sel:DWORD
	ds_read2_b32 v[104:105], v75 offset0:150 offset1:201
	v_fma_f16 v36, v36, v144, -v98
	v_mul_f16_sdwa v98, v37, v145 dst_sel:DWORD dst_unused:UNUSED_PAD src0_sel:WORD_1 src1_sel:DWORD
	v_lshrrev_b32_e32 v147, 16, v99
	v_fma_f16 v98, v37, v97, v98
	v_mul_f16_sdwa v97, v37, v97 dst_sel:DWORD dst_unused:UNUSED_PAD src0_sel:WORD_1 src1_sel:DWORD
	v_fma_f16 v37, v37, v145, -v97
	v_mul_f16_sdwa v97, v38, v147 dst_sel:DWORD dst_unused:UNUSED_PAD src0_sel:WORD_1 src1_sel:DWORD
	s_waitcnt lgkmcnt(1)
	v_lshrrev_b32_e32 v148, 16, v102
	v_fma_f16 v97, v38, v99, v97
	v_mul_f16_sdwa v99, v38, v99 dst_sel:DWORD dst_unused:UNUSED_PAD src0_sel:WORD_1 src1_sel:DWORD
	v_fma_f16 v38, v38, v147, -v99
	v_mul_f16_sdwa v99, v39, v148 dst_sel:DWORD dst_unused:UNUSED_PAD src0_sel:WORD_1 src1_sel:DWORD
	s_waitcnt lgkmcnt(0)
	v_lshrrev_b32_e32 v150, 16, v104
	v_add_u32_e32 v19, 0x1600, v16
	v_fma_f16 v99, v39, v102, v99
	v_mul_f16_sdwa v102, v39, v102 dst_sel:DWORD dst_unused:UNUSED_PAD src0_sel:WORD_1 src1_sel:DWORD
	ds_read2_b32 v[136:137], v19 offset0:122 offset1:173
	v_add_u32_e32 v79, 0xe00, v16
	v_fma_f16 v39, v39, v148, -v102
	v_mul_f16_sdwa v102, v40, v150 dst_sel:DWORD dst_unused:UNUSED_PAD src0_sel:WORD_1 src1_sel:DWORD
	v_lshrrev_b32_e32 v151, 16, v103
	ds_read2_b32 v[138:139], v79 offset0:124 offset1:175
	v_fma_f16 v102, v40, v104, v102
	v_mul_f16_sdwa v104, v40, v104 dst_sel:DWORD dst_unused:UNUSED_PAD src0_sel:WORD_1 src1_sel:DWORD
	v_fma_f16 v40, v40, v150, -v104
	v_mul_f16_sdwa v104, v41, v151 dst_sel:DWORD dst_unused:UNUSED_PAD src0_sel:WORD_1 src1_sel:DWORD
	v_lshrrev_b32_e32 v153, 16, v105
	v_fma_f16 v104, v41, v103, v104
	v_mul_f16_sdwa v103, v41, v103 dst_sel:DWORD dst_unused:UNUSED_PAD src0_sel:WORD_1 src1_sel:DWORD
	ds_read_b32 v156, v16 offset:6528
	v_fma_f16 v41, v41, v151, -v103
	v_mul_f16_sdwa v103, v42, v153 dst_sel:DWORD dst_unused:UNUSED_PAD src0_sel:WORD_1 src1_sel:DWORD
	s_waitcnt lgkmcnt(2)
	v_lshrrev_b32_e32 v154, 16, v136
	v_fma_f16 v103, v42, v105, v103
	v_mul_f16_sdwa v105, v42, v105 dst_sel:DWORD dst_unused:UNUSED_PAD src0_sel:WORD_1 src1_sel:DWORD
	ds_read2_b32 v[82:83], v16 offset1:51
	s_waitcnt lgkmcnt(2)
	v_lshrrev_b32_e32 v157, 16, v138
	v_fma_f16 v42, v42, v153, -v105
	v_mul_f16_sdwa v105, v43, v154 dst_sel:DWORD dst_unused:UNUSED_PAD src0_sel:WORD_1 src1_sel:DWORD
	v_mul_f16_sdwa v121, v43, v136 dst_sel:DWORD dst_unused:UNUSED_PAD src0_sel:WORD_1 src1_sel:DWORD
	v_lshrrev_b32_e32 v158, 16, v137
	v_fma_f16 v105, v43, v136, v105
	v_fma_f16 v43, v43, v154, -v121
	v_mul_f16_sdwa v121, v44, v157 dst_sel:DWORD dst_unused:UNUSED_PAD src0_sel:WORD_1 src1_sel:DWORD
	v_mul_f16_sdwa v124, v44, v138 dst_sel:DWORD dst_unused:UNUSED_PAD src0_sel:WORD_1 src1_sel:DWORD
	v_lshrrev_b32_e32 v160, 16, v139
	v_fma_f16 v121, v44, v138, v121
	v_fma_f16 v44, v44, v157, -v124
	v_mul_f16_sdwa v124, v45, v158 dst_sel:DWORD dst_unused:UNUSED_PAD src0_sel:WORD_1 src1_sel:DWORD
	v_mul_f16_sdwa v126, v45, v137 dst_sel:DWORD dst_unused:UNUSED_PAD src0_sel:WORD_1 src1_sel:DWORD
	s_waitcnt lgkmcnt(1)
	v_lshrrev_b32_e32 v161, 16, v156
	v_fma_f16 v124, v45, v137, v124
	v_fma_f16 v45, v45, v158, -v126
	v_mul_f16_sdwa v126, v46, v160 dst_sel:DWORD dst_unused:UNUSED_PAD src0_sel:WORD_1 src1_sel:DWORD
	v_mul_f16_sdwa v127, v46, v139 dst_sel:DWORD dst_unused:UNUSED_PAD src0_sel:WORD_1 src1_sel:DWORD
	v_fma_f16 v126, v46, v139, v126
	v_fma_f16 v46, v46, v160, -v127
	v_mul_f16_sdwa v127, v47, v161 dst_sel:DWORD dst_unused:UNUSED_PAD src0_sel:WORD_1 src1_sel:DWORD
	v_mul_f16_sdwa v129, v47, v156 dst_sel:DWORD dst_unused:UNUSED_PAD src0_sel:WORD_1 src1_sel:DWORD
	v_add_f16_e32 v130, v162, v26
	s_waitcnt lgkmcnt(0)
	v_lshrrev_b32_e32 v81, 16, v82
	v_fma_f16 v127, v47, v156, v127
	v_fma_f16 v47, v47, v161, -v129
	v_add_f16_e32 v129, v82, v162
	v_fma_f16 v82, v130, -0.5, v82
	v_sub_f16_e32 v130, v25, v27
	s_mov_b32 s0, 0xbaee
	s_movk_i32 s1, 0x3aee
	ds_read2_b32 v[88:89], v16 offset0:102 offset1:153
	v_fma_f16 v132, v130, s0, v82
	v_fma_f16 v82, v130, s1, v82
	v_add_f16_e32 v130, v81, v25
	v_add_f16_e32 v25, v25, v27
	;; [unrolled: 1-line block ×3, first 2 shown]
	v_fma_f16 v25, v25, -0.5, v81
	v_sub_f16_e32 v26, v162, v26
	v_add_f16_e32 v81, v84, v86
	v_lshrrev_b32_e32 v125, 16, v83
	v_add_f16_e32 v130, v130, v27
	v_fma_f16 v27, v26, s1, v25
	v_fma_f16 v25, v26, s0, v25
	v_add_f16_e32 v26, v83, v84
	v_fma_f16 v81, v81, -0.5, v83
	v_sub_f16_e32 v83, v28, v29
	v_fma_f16 v133, v83, s0, v81
	v_fma_f16 v81, v83, s1, v81
	v_add_f16_e32 v83, v125, v28
	v_add_f16_e32 v28, v28, v29
	;; [unrolled: 1-line block ×4, first 2 shown]
	v_fma_f16 v28, v28, -0.5, v125
	v_sub_f16_e32 v29, v84, v86
	v_add_f16_e32 v86, v85, v87
	s_waitcnt lgkmcnt(0)
	v_lshrrev_b32_e32 v128, 16, v88
	v_fma_f16 v84, v29, s1, v28
	v_fma_f16 v28, v29, s0, v28
	v_add_f16_e32 v29, v88, v85
	v_fma_f16 v86, v86, -0.5, v88
	v_sub_f16_e32 v88, v30, v31
	ds_read2_b32 v[94:95], v16 offset0:204 offset1:255
	v_fma_f16 v125, v88, s0, v86
	v_fma_f16 v86, v88, s1, v86
	v_add_f16_e32 v88, v128, v30
	v_add_f16_e32 v30, v30, v31
	;; [unrolled: 1-line block ×4, first 2 shown]
	v_fma_f16 v30, v30, -0.5, v128
	v_sub_f16_e32 v31, v85, v87
	v_add_f16_e32 v87, v90, v92
	v_lshrrev_b32_e32 v131, 16, v89
	v_fma_f16 v85, v31, s1, v30
	v_fma_f16 v30, v31, s0, v30
	v_add_f16_e32 v31, v89, v90
	v_fma_f16 v87, v87, -0.5, v89
	v_sub_f16_e32 v89, v32, v33
	v_fma_f16 v128, v89, s0, v87
	v_fma_f16 v87, v89, s1, v87
	v_add_f16_e32 v89, v131, v32
	v_add_f16_e32 v32, v32, v33
	v_add_f16_e32 v31, v31, v92
	v_add_f16_e32 v89, v89, v33
	v_fma_f16 v32, v32, -0.5, v131
	v_sub_f16_e32 v33, v90, v92
	v_add_f16_e32 v92, v91, v93
	s_waitcnt lgkmcnt(0)
	v_lshrrev_b32_e32 v140, 16, v94
	v_add_u32_e32 v80, 0x400, v16
	v_fma_f16 v90, v33, s1, v32
	v_fma_f16 v32, v33, s0, v32
	v_add_f16_e32 v33, v94, v91
	v_fma_f16 v92, v92, -0.5, v94
	v_sub_f16_e32 v94, v34, v35
	ds_read2_b32 v[100:101], v80 offset0:50 offset1:101
	v_fma_f16 v131, v94, s0, v92
	v_fma_f16 v92, v94, s1, v92
	v_add_f16_e32 v94, v140, v34
	v_add_f16_e32 v34, v34, v35
	;; [unrolled: 1-line block ×4, first 2 shown]
	v_fma_f16 v34, v34, -0.5, v140
	v_sub_f16_e32 v35, v91, v93
	v_add_f16_e32 v93, v96, v98
	v_lshrrev_b32_e32 v143, 16, v95
	v_fma_f16 v91, v35, s1, v34
	v_fma_f16 v34, v35, s0, v34
	v_add_f16_e32 v35, v95, v96
	v_fma_f16 v93, v93, -0.5, v95
	v_sub_f16_e32 v95, v36, v37
	v_fma_f16 v136, v95, s0, v93
	v_fma_f16 v93, v95, s1, v93
	v_add_f16_e32 v95, v143, v36
	v_add_f16_e32 v36, v36, v37
	v_add_f16_e32 v35, v35, v98
	v_add_f16_e32 v95, v95, v37
	v_fma_f16 v36, v36, -0.5, v143
	v_sub_f16_e32 v37, v96, v98
	v_add_f16_e32 v98, v97, v99
	s_waitcnt lgkmcnt(0)
	v_lshrrev_b32_e32 v146, 16, v100
	v_fma_f16 v96, v37, s1, v36
	v_fma_f16 v36, v37, s0, v36
	v_add_f16_e32 v37, v100, v97
	v_fma_f16 v98, v98, -0.5, v100
	v_sub_f16_e32 v100, v38, v39
	ds_read2_b32 v[122:123], v80 offset0:152 offset1:203
	v_fma_f16 v137, v100, s0, v98
	v_fma_f16 v98, v100, s1, v98
	v_add_f16_e32 v100, v146, v38
	v_add_f16_e32 v38, v38, v39
	;; [unrolled: 1-line block ×4, first 2 shown]
	v_fma_f16 v38, v38, -0.5, v146
	v_sub_f16_e32 v39, v97, v99
	v_add_f16_e32 v99, v102, v104
	v_lshrrev_b32_e32 v149, 16, v101
	v_fma_f16 v97, v39, s1, v38
	v_fma_f16 v38, v39, s0, v38
	v_add_f16_e32 v39, v101, v102
	v_fma_f16 v99, v99, -0.5, v101
	v_sub_f16_e32 v101, v40, v41
	v_fma_f16 v138, v101, s0, v99
	v_fma_f16 v99, v101, s1, v99
	v_add_f16_e32 v101, v149, v40
	v_add_f16_e32 v40, v40, v41
	;; [unrolled: 1-line block ×4, first 2 shown]
	v_fma_f16 v40, v40, -0.5, v149
	v_sub_f16_e32 v41, v102, v104
	v_add_f16_e32 v104, v103, v105
	s_waitcnt lgkmcnt(0)
	v_lshrrev_b32_e32 v152, 16, v122
	v_fma_f16 v102, v41, s1, v40
	v_fma_f16 v40, v41, s0, v40
	v_add_f16_e32 v41, v122, v103
	v_fma_f16 v104, v104, -0.5, v122
	v_sub_f16_e32 v122, v42, v43
	v_fma_f16 v139, v122, s0, v104
	v_fma_f16 v104, v122, s1, v104
	v_add_f16_e32 v122, v152, v42
	v_add_f16_e32 v42, v42, v43
	;; [unrolled: 1-line block ×4, first 2 shown]
	v_fma_f16 v42, v42, -0.5, v152
	v_sub_f16_e32 v43, v103, v105
	v_add_f16_e32 v105, v121, v124
	v_lshrrev_b32_e32 v155, 16, v123
	v_fma_f16 v103, v43, s1, v42
	v_fma_f16 v42, v43, s0, v42
	v_add_f16_e32 v43, v123, v121
	v_fma_f16 v105, v105, -0.5, v123
	v_sub_f16_e32 v123, v44, v45
	v_fma_f16 v140, v123, s0, v105
	v_fma_f16 v105, v123, s1, v105
	v_add_f16_e32 v123, v155, v44
	v_add_f16_e32 v44, v44, v45
	;; [unrolled: 1-line block ×4, first 2 shown]
	v_fma_f16 v44, v44, -0.5, v155
	v_sub_f16_e32 v45, v121, v124
	v_add_f16_e32 v124, v126, v127
	v_lshrrev_b32_e32 v159, 16, v24
	v_fma_f16 v121, v45, s1, v44
	v_fma_f16 v44, v45, s0, v44
	v_add_f16_e32 v45, v24, v126
	v_fma_f16 v24, v124, -0.5, v24
	v_sub_f16_e32 v124, v46, v47
	v_fma_f16 v141, v124, s0, v24
	v_fma_f16 v24, v124, s1, v24
	v_add_f16_e32 v124, v159, v46
	v_add_f16_e32 v46, v46, v47
	;; [unrolled: 1-line block ×3, first 2 shown]
	v_fma_f16 v46, v46, -0.5, v159
	v_sub_f16_e32 v47, v126, v127
	v_pack_b32_f16 v25, v82, v25
	v_fma_f16 v126, v47, s1, v46
	v_fma_f16 v46, v47, s0, v46
	s_waitcnt lgkmcnt(0)
	; wave barrier
	v_pack_b32_f16 v47, v129, v130
	v_pack_b32_f16 v27, v132, v27
	ds_write_b32 v205, v25 offset:136
	v_pack_b32_f16 v25, v26, v83
	v_pack_b32_f16 v26, v133, v84
	ds_write2_b32 v205, v47, v27 offset1:17
	ds_write2_b32 v206, v25, v26 offset1:17
	v_pack_b32_f16 v25, v81, v28
	ds_write_b32 v206, v25 offset:136
	v_pack_b32_f16 v25, v29, v88
	v_pack_b32_f16 v26, v125, v85
	ds_write2_b32 v207, v25, v26 offset1:17
	v_pack_b32_f16 v25, v86, v30
	ds_write_b32 v207, v25 offset:136
	v_pack_b32_f16 v25, v31, v89
	v_pack_b32_f16 v26, v128, v90
	;; [unrolled: 5-line block ×8, first 2 shown]
	v_add_f16_e32 v45, v45, v127
	ds_write2_b32 v214, v25, v26 offset1:17
	v_pack_b32_f16 v25, v105, v44
	ds_write_b32 v214, v25 offset:136
	v_pack_b32_f16 v25, v45, v124
	v_pack_b32_f16 v26, v141, v126
	;; [unrolled: 1-line block ×3, first 2 shown]
	ds_write2_b32 v134, v25, v26 offset1:17
	ds_write_b32 v134, v24 offset:136
	s_waitcnt lgkmcnt(0)
	; wave barrier
	s_waitcnt lgkmcnt(0)
	ds_read2_b32 v[24:25], v16 offset0:102 offset1:153
	ds_read2_b32 v[28:29], v80 offset0:50 offset1:101
	ds_read2_b32 v[26:27], v16 offset1:51
	ds_read2_b32 v[32:33], v80 offset0:152 offset1:203
	ds_read2_b32 v[30:31], v76 offset0:100 offset1:151
	;; [unrolled: 1-line block ×4, first 2 shown]
	s_waitcnt lgkmcnt(6)
	v_lshrrev_b32_e32 v44, 16, v25
	v_mul_f16_sdwa v136, v0, v44 dst_sel:DWORD dst_unused:UNUSED_PAD src0_sel:WORD_1 src1_sel:DWORD
	s_waitcnt lgkmcnt(5)
	v_lshrrev_b32_e32 v45, 16, v28
	v_fma_f16 v136, v0, v25, v136
	v_mul_f16_sdwa v25, v0, v25 dst_sel:DWORD dst_unused:UNUSED_PAD src0_sel:WORD_1 src1_sel:DWORD
	v_fma_f16 v44, v0, v44, -v25
	v_mul_f16_sdwa v25, v1, v45 dst_sel:DWORD dst_unused:UNUSED_PAD src0_sel:WORD_1 src1_sel:DWORD
	s_waitcnt lgkmcnt(3)
	v_lshrrev_b32_e32 v46, 16, v33
	v_fma_f16 v137, v1, v28, v25
	v_mul_f16_sdwa v25, v1, v28 dst_sel:DWORD dst_unused:UNUSED_PAD src0_sel:WORD_1 src1_sel:DWORD
	v_fma_f16 v138, v1, v45, -v25
	v_mul_f16_sdwa v25, v2, v46 dst_sel:DWORD dst_unused:UNUSED_PAD src0_sel:WORD_1 src1_sel:DWORD
	s_waitcnt lgkmcnt(2)
	v_lshrrev_b32_e32 v47, 16, v30
	v_fma_f16 v139, v2, v33, v25
	v_mul_f16_sdwa v25, v2, v33 dst_sel:DWORD dst_unused:UNUSED_PAD src0_sel:WORD_1 src1_sel:DWORD
	ds_read2_b32 v[38:39], v79 offset0:124 offset1:175
	v_fma_f16 v33, v2, v46, -v25
	v_mul_f16_sdwa v25, v3, v47 dst_sel:DWORD dst_unused:UNUSED_PAD src0_sel:WORD_1 src1_sel:DWORD
	s_waitcnt lgkmcnt(2)
	v_lshrrev_b32_e32 v81, 16, v35
	v_fma_f16 v46, v3, v30, v25
	v_mul_f16_sdwa v25, v3, v30 dst_sel:DWORD dst_unused:UNUSED_PAD src0_sel:WORD_1 src1_sel:DWORD
	v_fma_f16 v140, v3, v47, -v25
	v_mul_f16_sdwa v25, v4, v81 dst_sel:DWORD dst_unused:UNUSED_PAD src0_sel:WORD_1 src1_sel:DWORD
	s_waitcnt lgkmcnt(1)
	v_lshrrev_b32_e32 v86, 16, v36
	ds_read2_b32 v[40:41], v74 offset0:200 offset1:251
	ds_read2_b32 v[42:43], v78 offset0:46 offset1:97
	v_fma_f16 v141, v4, v35, v25
	v_mul_f16_sdwa v25, v4, v35 dst_sel:DWORD dst_unused:UNUSED_PAD src0_sel:WORD_1 src1_sel:DWORD
	v_fma_f16 v35, v4, v81, -v25
	v_mul_f16_sdwa v25, v5, v86 dst_sel:DWORD dst_unused:UNUSED_PAD src0_sel:WORD_1 src1_sel:DWORD
	s_waitcnt lgkmcnt(2)
	v_lshrrev_b32_e32 v87, 16, v39
	v_fma_f16 v142, v5, v36, v25
	v_mul_f16_sdwa v25, v5, v36 dst_sel:DWORD dst_unused:UNUSED_PAD src0_sel:WORD_1 src1_sel:DWORD
	v_fma_f16 v36, v5, v86, -v25
	v_mul_f16_sdwa v25, v6, v87 dst_sel:DWORD dst_unused:UNUSED_PAD src0_sel:WORD_1 src1_sel:DWORD
	ds_read2_b32 v[82:83], v19 offset0:122 offset1:173
	ds_read2_b32 v[84:85], v16 offset0:204 offset1:255
	s_waitcnt lgkmcnt(3)
	v_lshrrev_b32_e32 v88, 16, v40
	v_fma_f16 v86, v6, v39, v25
	v_mul_f16_sdwa v25, v6, v39 dst_sel:DWORD dst_unused:UNUSED_PAD src0_sel:WORD_1 src1_sel:DWORD
	v_fma_f16 v143, v6, v87, -v25
	v_mul_f16_sdwa v25, v7, v88 dst_sel:DWORD dst_unused:UNUSED_PAD src0_sel:WORD_1 src1_sel:DWORD
	s_waitcnt lgkmcnt(2)
	v_lshrrev_b32_e32 v89, 16, v43
	v_fma_f16 v144, v7, v40, v25
	v_mul_f16_sdwa v25, v7, v40 dst_sel:DWORD dst_unused:UNUSED_PAD src0_sel:WORD_1 src1_sel:DWORD
	v_fma_f16 v40, v7, v88, -v25
	v_mul_f16_sdwa v25, v48, v89 dst_sel:DWORD dst_unused:UNUSED_PAD src0_sel:WORD_1 src1_sel:DWORD
	s_waitcnt lgkmcnt(1)
	v_lshrrev_b32_e32 v98, 16, v82
	v_fma_f16 v145, v48, v43, v25
	v_mul_f16_sdwa v25, v48, v43 dst_sel:DWORD dst_unused:UNUSED_PAD src0_sel:WORD_1 src1_sel:DWORD
	ds_read2_b32 v[90:91], v77 offset0:126 offset1:177
	v_fma_f16 v43, v48, v89, -v25
	v_mul_f16_sdwa v25, v49, v98 dst_sel:DWORD dst_unused:UNUSED_PAD src0_sel:WORD_1 src1_sel:DWORD
	s_waitcnt lgkmcnt(1)
	v_lshrrev_b32_e32 v99, 16, v84
	v_fma_f16 v146, v49, v82, v25
	v_mul_f16_sdwa v25, v49, v82 dst_sel:DWORD dst_unused:UNUSED_PAD src0_sel:WORD_1 src1_sel:DWORD
	v_fma_f16 v98, v49, v98, -v25
	v_mul_f16_sdwa v25, v0, v99 dst_sel:DWORD dst_unused:UNUSED_PAD src0_sel:WORD_1 src1_sel:DWORD
	v_lshrrev_b32_e32 v100, 16, v29
	v_fma_f16 v147, v0, v84, v25
	v_mul_f16_sdwa v25, v0, v84 dst_sel:DWORD dst_unused:UNUSED_PAD src0_sel:WORD_1 src1_sel:DWORD
	ds_read2_b32 v[92:93], v75 offset0:48 offset1:99
	v_fma_f16 v99, v0, v99, -v25
	v_mul_f16_sdwa v0, v1, v100 dst_sel:DWORD dst_unused:UNUSED_PAD src0_sel:WORD_1 src1_sel:DWORD
	s_waitcnt lgkmcnt(1)
	v_lshrrev_b32_e32 v101, 16, v90
	v_fma_f16 v148, v1, v29, v0
	v_mul_f16_sdwa v0, v1, v29 dst_sel:DWORD dst_unused:UNUSED_PAD src0_sel:WORD_1 src1_sel:DWORD
	v_fma_f16 v100, v1, v100, -v0
	v_mul_f16_sdwa v0, v2, v101 dst_sel:DWORD dst_unused:UNUSED_PAD src0_sel:WORD_1 src1_sel:DWORD
	;; [unrolled: 12-line block ×4, first 2 shown]
	v_lshrrev_b32_e32 v121, 16, v41
	v_fma_f16 v89, v6, v94, v0
	v_mul_f16_sdwa v0, v6, v94 dst_sel:DWORD dst_unused:UNUSED_PAD src0_sel:WORD_1 src1_sel:DWORD
	v_fma_f16 v90, v6, v105, -v0
	v_mul_f16_sdwa v0, v7, v121 dst_sel:DWORD dst_unused:UNUSED_PAD src0_sel:WORD_1 src1_sel:DWORD
	s_waitcnt lgkmcnt(0)
	v_lshrrev_b32_e32 v122, 16, v96
	v_fma_f16 v92, v7, v41, v0
	v_mul_f16_sdwa v0, v7, v41 dst_sel:DWORD dst_unused:UNUSED_PAD src0_sel:WORD_1 src1_sel:DWORD
	v_fma_f16 v94, v7, v121, -v0
	v_mul_f16_sdwa v0, v48, v122 dst_sel:DWORD dst_unused:UNUSED_PAD src0_sel:WORD_1 src1_sel:DWORD
	v_lshrrev_b32_e32 v123, 16, v83
	v_fma_f16 v102, v48, v96, v0
	v_mul_f16_sdwa v0, v48, v96 dst_sel:DWORD dst_unused:UNUSED_PAD src0_sel:WORD_1 src1_sel:DWORD
	v_fma_f16 v96, v48, v122, -v0
	v_mul_f16_sdwa v0, v49, v123 dst_sel:DWORD dst_unused:UNUSED_PAD src0_sel:WORD_1 src1_sel:DWORD
	;; [unrolled: 5-line block ×8, first 2 shown]
	v_lshrrev_b32_e32 v131, 16, v95
	v_fma_f16 v4, v13, v38, v0
	v_mul_f16_sdwa v0, v13, v38 dst_sel:DWORD dst_unused:UNUSED_PAD src0_sel:WORD_1 src1_sel:DWORD
	v_add_f16_sdwa v1, v26, v44 dst_sel:DWORD dst_unused:UNUSED_PAD src0_sel:WORD_1 src1_sel:DWORD
	ds_read_b32 v129, v16 offset:6528
	v_fma_f16 v5, v13, v130, -v0
	v_mul_f16_sdwa v0, v14, v131 dst_sel:DWORD dst_unused:UNUSED_PAD src0_sel:WORD_1 src1_sel:DWORD
	v_add_f16_e32 v1, v1, v138
	v_lshrrev_b32_e32 v132, 16, v42
	v_fma_f16 v8, v14, v95, v0
	v_mul_f16_sdwa v0, v14, v95 dst_sel:DWORD dst_unused:UNUSED_PAD src0_sel:WORD_1 src1_sel:DWORD
	v_add_f16_e32 v1, v1, v33
	v_fma_f16 v9, v14, v131, -v0
	v_mul_f16_sdwa v0, v15, v132 dst_sel:DWORD dst_unused:UNUSED_PAD src0_sel:WORD_1 src1_sel:DWORD
	v_add_f16_e32 v1, v1, v140
	v_lshrrev_b32_e32 v133, 16, v97
	v_fma_f16 v11, v15, v42, v0
	v_mul_f16_sdwa v0, v15, v42 dst_sel:DWORD dst_unused:UNUSED_PAD src0_sel:WORD_1 src1_sel:DWORD
	v_add_f16_e32 v1, v1, v35
	v_fma_f16 v12, v15, v132, -v0
	v_mul_f16_sdwa v0, v50, v133 dst_sel:DWORD dst_unused:UNUSED_PAD src0_sel:WORD_1 src1_sel:DWORD
	v_add_f16_e32 v1, v1, v36
	s_waitcnt lgkmcnt(0)
	v_lshrrev_b32_e32 v134, 16, v129
	v_fma_f16 v13, v50, v97, v0
	v_mul_f16_sdwa v0, v50, v97 dst_sel:DWORD dst_unused:UNUSED_PAD src0_sel:WORD_1 src1_sel:DWORD
	v_add_f16_e32 v1, v1, v143
	v_fma_f16 v14, v50, v133, -v0
	v_mul_f16_sdwa v0, v51, v134 dst_sel:DWORD dst_unused:UNUSED_PAD src0_sel:WORD_1 src1_sel:DWORD
	v_add_f16_e32 v1, v1, v40
	v_fma_f16 v38, v51, v129, v0
	v_mul_f16_sdwa v0, v51, v129 dst_sel:DWORD dst_unused:UNUSED_PAD src0_sel:WORD_1 src1_sel:DWORD
	v_add_f16_e32 v1, v1, v43
	v_add_f16_e32 v32, v44, v98
	v_sub_f16_e32 v37, v44, v98
	v_fma_f16 v39, v51, v134, -v0
	v_add_f16_e32 v1, v1, v98
	v_add_f16_e32 v15, v136, v146
	v_sub_f16_e32 v34, v136, v146
	s_mov_b32 s16, 0xb853
	v_mul_f16_e32 v41, 0xb853, v37
	s_movk_i32 s17, 0x3abb
	v_mul_f16_e32 v44, 0x3abb, v32
	s_movk_i32 s18, 0x3853
	s_mov_b32 s6, 0xbb47
	v_mul_f16_e32 v49, 0xbb47, v37
	s_movk_i32 s7, 0x36a6
	v_mul_f16_e32 v51, 0x36a6, v32
	s_movk_i32 s14, 0x3b47
	s_mov_b32 s5, 0xbbeb
	v_mul_f16_e32 v84, 0xbbeb, v37
	s_mov_b32 s15, 0xb08e
	v_mul_f16_e32 v91, 0xb08e, v32
	s_movk_i32 s19, 0x3beb
	s_mov_b32 s20, 0xba0c
	v_mul_f16_e32 v95, 0xba0c, v37
	s_mov_b32 s21, 0xb93d
	;; [unrolled: 5-line block ×3, first 2 shown]
	v_mul_f16_e32 v32, 0xbbad, v32
	s_movk_i32 s25, 0x3482
	v_fma_f16 v42, v15, s17, v41
	v_fma_f16 v48, v34, s18, v44
	v_fma_f16 v41, v15, s17, -v41
	v_fma_f16 v44, v34, s16, v44
	v_fma_f16 v50, v15, s7, v49
	v_fma_f16 v83, v34, s14, v51
	v_fma_f16 v49, v15, s7, -v49
	v_fma_f16 v51, v34, s6, v51
	;; [unrolled: 4-line block ×5, first 2 shown]
	v_add_f16_e32 v34, v138, v43
	v_sub_f16_e32 v43, v138, v43
	v_add_f16_e32 v0, v26, v136
	v_add_f16_e32 v42, v26, v42
	v_add_f16_sdwa v48, v26, v48 dst_sel:DWORD dst_unused:UNUSED_PAD src0_sel:WORD_1 src1_sel:DWORD
	v_add_f16_e32 v41, v26, v41
	v_add_f16_sdwa v44, v26, v44 dst_sel:DWORD dst_unused:UNUSED_PAD src0_sel:WORD_1 src1_sel:DWORD
	;; [unrolled: 2-line block ×10, first 2 shown]
	v_add_f16_e32 v32, v137, v145
	v_mul_f16_e32 v123, 0xbb47, v43
	v_fma_f16 v124, v32, s7, v123
	v_sub_f16_e32 v37, v137, v145
	v_add_f16_e32 v42, v124, v42
	v_mul_f16_e32 v124, 0x36a6, v34
	v_fma_f16 v123, v32, s7, -v123
	v_add_f16_e32 v41, v123, v41
	v_fma_f16 v123, v37, s6, v124
	v_add_f16_e32 v44, v123, v44
	v_mul_f16_e32 v123, 0xba0c, v43
	v_fma_f16 v125, v37, s14, v124
	v_fma_f16 v124, v32, s21, v123
	v_add_f16_e32 v50, v124, v50
	v_mul_f16_e32 v124, 0xb93d, v34
	v_fma_f16 v123, v32, s21, -v123
	v_add_f16_e32 v49, v123, v49
	v_fma_f16 v123, v37, s20, v124
	v_add_f16_e32 v51, v123, v51
	v_mul_f16_e32 v123, 0x3482, v43
	v_add_f16_e32 v48, v125, v48
	v_fma_f16 v125, v37, s22, v124
	v_fma_f16 v124, v32, s24, v123
	v_add_f16_e32 v85, v124, v85
	v_mul_f16_e32 v124, 0xbbad, v34
	v_fma_f16 v123, v32, s24, -v123
	v_add_f16_e32 v84, v123, v84
	v_fma_f16 v123, v37, s25, v124
	v_add_f16_e32 v91, v123, v91
	v_mul_f16_e32 v123, 0x3beb, v43
	v_add_f16_e32 v83, v125, v83
	v_fma_f16 v125, v37, s23, v124
	v_fma_f16 v124, v32, s15, v123
	v_add_f16_e32 v97, v124, v97
	v_mul_f16_e32 v124, 0xb08e, v34
	v_fma_f16 v123, v32, s15, -v123
	v_add_f16_e32 v95, v123, v95
	v_fma_f16 v123, v37, s19, v124
	v_mul_f16_e32 v43, 0x3853, v43
	v_add_f16_e32 v98, v123, v98
	v_fma_f16 v123, v32, s17, v43
	v_mul_f16_e32 v34, 0x3abb, v34
	v_fma_f16 v32, v32, s17, -v43
	v_add_f16_e32 v121, v123, v121
	v_fma_f16 v123, v37, s16, v34
	v_add_f16_e32 v15, v32, v15
	v_fma_f16 v32, v37, s18, v34
	v_add_f16_e32 v34, v33, v40
	v_sub_f16_e32 v33, v33, v40
	v_add_f16_e32 v26, v32, v26
	v_add_f16_e32 v32, v139, v144
	v_mul_f16_e32 v40, 0xbbeb, v33
	v_fma_f16 v43, v32, s15, v40
	v_add_f16_e32 v93, v125, v93
	v_fma_f16 v125, v37, s5, v124
	v_sub_f16_e32 v37, v139, v144
	v_add_f16_e32 v42, v43, v42
	v_mul_f16_e32 v43, 0xb08e, v34
	v_fma_f16 v40, v32, s15, -v40
	v_add_f16_e32 v122, v123, v122
	v_fma_f16 v123, v37, s19, v43
	v_add_f16_e32 v40, v40, v41
	v_fma_f16 v41, v37, s5, v43
	v_mul_f16_e32 v43, 0x3482, v33
	v_add_f16_e32 v41, v41, v44
	v_fma_f16 v44, v32, s24, v43
	v_add_f16_e32 v44, v44, v50
	v_mul_f16_e32 v50, 0xbbad, v34
	v_fma_f16 v43, v32, s24, -v43
	v_add_f16_e32 v48, v123, v48
	v_fma_f16 v123, v37, s23, v50
	v_add_f16_e32 v43, v43, v49
	v_fma_f16 v49, v37, s25, v50
	v_mul_f16_e32 v50, 0x3b47, v33
	v_add_f16_e32 v49, v49, v51
	v_fma_f16 v51, v32, s7, v50
	v_add_f16_e32 v51, v51, v85
	v_mul_f16_e32 v85, 0x36a6, v34
	v_fma_f16 v50, v32, s7, -v50
	v_add_f16_e32 v83, v123, v83
	v_fma_f16 v123, v37, s6, v85
	v_add_f16_e32 v50, v50, v84
	v_fma_f16 v84, v37, s14, v85
	v_mul_f16_e32 v85, 0xb853, v33
	v_add_f16_e32 v0, v0, v137
	v_add_f16_e32 v84, v84, v91
	v_fma_f16 v91, v32, s17, v85
	v_add_f16_e32 v0, v0, v139
	v_add_f16_e32 v91, v91, v97
	v_mul_f16_e32 v97, 0x3abb, v34
	v_fma_f16 v85, v32, s17, -v85
	v_mul_f16_e32 v33, 0xba0c, v33
	v_add_f16_e32 v0, v0, v46
	v_add_f16_e32 v93, v123, v93
	v_fma_f16 v123, v37, s18, v97
	v_add_f16_e32 v85, v85, v95
	v_fma_f16 v95, v37, s16, v97
	v_fma_f16 v97, v32, s21, v33
	v_mul_f16_e32 v34, 0xb93d, v34
	v_fma_f16 v32, v32, s21, -v33
	v_add_f16_e32 v0, v0, v141
	v_add_f16_e32 v95, v95, v98
	v_fma_f16 v98, v37, s22, v34
	v_add_f16_e32 v15, v32, v15
	v_fma_f16 v32, v37, s20, v34
	v_sub_f16_e32 v37, v140, v143
	v_add_f16_e32 v0, v0, v142
	v_add_f16_e32 v26, v32, v26
	;; [unrolled: 1-line block ×3, first 2 shown]
	v_sub_f16_e32 v34, v46, v86
	v_mul_f16_e32 v46, 0xba0c, v37
	v_add_f16_e32 v0, v0, v86
	v_add_f16_e32 v33, v140, v143
	v_fma_f16 v86, v32, s21, v46
	v_add_f16_e32 v42, v86, v42
	v_mul_f16_e32 v86, 0xb93d, v33
	v_fma_f16 v46, v32, s21, -v46
	v_add_f16_e32 v40, v46, v40
	v_fma_f16 v46, v34, s20, v86
	v_add_f16_e32 v41, v46, v41
	v_mul_f16_e32 v46, 0x3beb, v37
	v_add_f16_e32 v97, v97, v121
	v_fma_f16 v121, v34, s22, v86
	v_fma_f16 v86, v32, s15, v46
	v_add_f16_e32 v44, v86, v44
	v_mul_f16_e32 v86, 0xb08e, v33
	v_fma_f16 v46, v32, s15, -v46
	v_add_f16_e32 v43, v46, v43
	v_fma_f16 v46, v34, s19, v86
	v_add_f16_e32 v46, v46, v49
	v_mul_f16_e32 v49, 0xb853, v37
	v_add_f16_e32 v48, v121, v48
	v_fma_f16 v121, v34, s5, v86
	v_fma_f16 v86, v32, s17, v49
	v_add_f16_e32 v51, v86, v51
	v_mul_f16_e32 v86, 0x3abb, v33
	v_fma_f16 v49, v32, s17, -v49
	v_add_f16_e32 v49, v49, v50
	v_fma_f16 v50, v34, s16, v86
	v_add_f16_e32 v50, v50, v84
	v_mul_f16_e32 v84, 0xb482, v37
	v_add_f16_e32 v83, v121, v83
	v_fma_f16 v121, v34, s18, v86
	v_fma_f16 v86, v32, s24, v84
	v_add_f16_e32 v86, v86, v91
	v_mul_f16_e32 v91, 0xbbad, v33
	v_fma_f16 v84, v32, s24, -v84
	v_mul_f16_e32 v37, 0x3b47, v37
	v_add_f16_e32 v105, v125, v105
	v_add_f16_e32 v93, v121, v93
	v_fma_f16 v121, v34, s25, v91
	v_add_f16_e32 v84, v84, v85
	v_fma_f16 v85, v34, s23, v91
	v_fma_f16 v91, v32, s7, v37
	v_mul_f16_e32 v33, 0x36a6, v33
	v_fma_f16 v32, v32, s7, -v37
	v_add_f16_e32 v105, v123, v105
	v_add_f16_e32 v98, v98, v122
	;; [unrolled: 1-line block ×4, first 2 shown]
	v_fma_f16 v95, v34, s6, v33
	v_add_f16_e32 v97, v32, v15
	v_fma_f16 v15, v34, s14, v33
	v_sub_f16_e32 v124, v35, v36
	v_add_f16_e32 v105, v121, v105
	v_add_f16_e32 v95, v95, v98
	;; [unrolled: 1-line block ×4, first 2 shown]
	v_mul_f16_e32 v15, 0xb482, v124
	v_add_f16_e32 v122, v35, v36
	v_fma_f16 v26, v121, s24, v15
	v_sub_f16_e32 v123, v141, v142
	v_add_f16_e32 v32, v26, v42
	v_mul_f16_e32 v26, 0xbbad, v122
	v_fma_f16 v15, v121, s24, -v15
	v_mul_f16_e32 v34, 0x3853, v124
	v_fma_f16 v33, v123, s25, v26
	v_add_f16_e32 v15, v15, v40
	v_fma_f16 v26, v123, s23, v26
	v_fma_f16 v35, v121, s17, v34
	v_mul_f16_e32 v40, 0xba0c, v124
	v_add_f16_e32 v26, v26, v41
	v_add_f16_e32 v36, v35, v44
	v_mul_f16_e32 v35, 0x3abb, v122
	v_fma_f16 v41, v121, s21, v40
	v_fma_f16 v40, v121, s21, -v40
	v_fma_f16 v37, v123, s16, v35
	v_fma_f16 v35, v123, s18, v35
	v_add_f16_e32 v40, v40, v49
	v_mul_f16_e32 v49, 0x36a6, v122
	v_add_f16_e32 v33, v33, v48
	v_add_f16_e32 v35, v35, v46
	v_mul_f16_e32 v46, 0x3b47, v124
	v_fma_f16 v48, v123, s6, v49
	v_fma_f16 v49, v123, s14, v49
	;; [unrolled: 1-line block ×3, first 2 shown]
	v_add_f16_e32 v49, v49, v85
	v_add_f16_e32 v85, v27, v147
	;; [unrolled: 1-line block ×3, first 2 shown]
	v_add_f16_sdwa v86, v27, v99 dst_sel:DWORD dst_unused:UNUSED_PAD src0_sel:WORD_1 src1_sel:DWORD
	v_add_f16_e32 v85, v85, v148
	v_add_f16_e32 v86, v86, v100
	v_add_f16_e32 v85, v85, v149
	v_add_f16_e32 v86, v86, v101
	v_add_f16_e32 v85, v85, v87
	v_add_f16_e32 v86, v86, v88
	v_add_f16_e32 v85, v85, v45
	v_fma_f16 v34, v121, s17, -v34
	v_add_f16_e32 v42, v41, v51
	v_mul_f16_e32 v41, 0xb93d, v122
	v_add_f16_e32 v86, v86, v47
	v_add_f16_e32 v85, v85, v81
	;; [unrolled: 1-line block ×4, first 2 shown]
	v_fma_f16 v43, v123, s22, v41
	v_fma_f16 v41, v123, s20, v41
	v_fma_f16 v46, v121, s7, -v46
	v_mul_f16_e32 v83, 0xbbeb, v124
	v_add_f16_e32 v86, v86, v82
	v_add_f16_e32 v85, v85, v89
	;; [unrolled: 1-line block ×4, first 2 shown]
	v_fma_f16 v50, v121, s15, v83
	v_mul_f16_e32 v84, 0xb08e, v122
	v_fma_f16 v83, v121, s15, -v83
	v_add_f16_e32 v86, v86, v90
	v_add_f16_e32 v85, v85, v92
	;; [unrolled: 1-line block ×3, first 2 shown]
	v_fma_f16 v51, v123, s19, v84
	v_add_f16_e32 v83, v83, v97
	v_fma_f16 v84, v123, s5, v84
	v_add_f16_e32 v86, v86, v94
	v_add_f16_e32 v85, v85, v102
	;; [unrolled: 1-line block ×3, first 2 shown]
	v_sub_f16_e32 v97, v99, v104
	v_add_f16_e32 v48, v48, v105
	v_add_f16_e32 v50, v50, v91
	;; [unrolled: 1-line block ×7, first 2 shown]
	v_sub_f16_e32 v95, v147, v103
	v_mul_f16_e32 v98, 0xb853, v97
	v_mul_f16_e32 v103, 0x3abb, v93
	;; [unrolled: 1-line block ×10, first 2 shown]
	v_add_f16_e32 v86, v86, v104
	v_fma_f16 v99, v91, s17, v98
	v_fma_f16 v104, v95, s18, v103
	v_fma_f16 v98, v91, s17, -v98
	v_fma_f16 v103, v95, s16, v103
	v_fma_f16 v121, v91, s7, v105
	v_fma_f16 v123, v95, s14, v122
	v_fma_f16 v105, v91, s7, -v105
	v_fma_f16 v122, v95, s6, v122
	;; [unrolled: 4-line block ×5, first 2 shown]
	v_add_f16_e32 v95, v100, v96
	v_sub_f16_e32 v96, v100, v96
	v_add_f16_e32 v99, v27, v99
	v_add_f16_sdwa v104, v27, v104 dst_sel:DWORD dst_unused:UNUSED_PAD src0_sel:WORD_1 src1_sel:DWORD
	v_add_f16_e32 v98, v27, v98
	v_add_f16_sdwa v103, v27, v103 dst_sel:DWORD dst_unused:UNUSED_PAD src0_sel:WORD_1 src1_sel:DWORD
	;; [unrolled: 2-line block ×10, first 2 shown]
	v_add_f16_e32 v93, v148, v102
	v_mul_f16_e32 v100, 0xbb47, v96
	v_sub_f16_e32 v97, v148, v102
	v_fma_f16 v102, v93, s7, v100
	v_add_f16_e32 v99, v102, v99
	v_mul_f16_e32 v102, 0x36a6, v95
	v_fma_f16 v100, v93, s7, -v100
	v_fma_f16 v134, v97, s14, v102
	v_add_f16_e32 v98, v100, v98
	v_fma_f16 v100, v97, s6, v102
	v_mul_f16_e32 v102, 0xba0c, v96
	v_add_f16_e32 v100, v100, v103
	v_fma_f16 v103, v93, s21, v102
	v_add_f16_e32 v103, v103, v121
	v_mul_f16_e32 v121, 0xb93d, v95
	v_fma_f16 v102, v93, s21, -v102
	v_add_f16_e32 v104, v134, v104
	v_fma_f16 v134, v97, s22, v121
	v_add_f16_e32 v102, v102, v105
	v_fma_f16 v105, v97, s20, v121
	v_mul_f16_e32 v121, 0x3482, v96
	v_add_f16_e32 v105, v105, v122
	v_fma_f16 v122, v93, s24, v121
	v_add_f16_e32 v122, v122, v125
	v_mul_f16_e32 v125, 0xbbad, v95
	v_fma_f16 v121, v93, s24, -v121
	v_add_f16_e32 v123, v134, v123
	v_fma_f16 v134, v97, s23, v125
	v_add_f16_e32 v121, v121, v124
	v_fma_f16 v124, v97, s25, v125
	v_mul_f16_e32 v125, 0x3beb, v96
	v_add_f16_e32 v124, v124, v126
	v_fma_f16 v126, v93, s15, v125
	v_add_f16_e32 v126, v126, v129
	v_mul_f16_e32 v129, 0xb08e, v95
	v_fma_f16 v125, v93, s15, -v125
	v_mul_f16_e32 v96, 0x3853, v96
	v_add_f16_e32 v127, v134, v127
	v_fma_f16 v134, v97, s5, v129
	v_add_f16_e32 v125, v125, v128
	v_fma_f16 v128, v97, s19, v129
	v_fma_f16 v129, v93, s17, v96
	v_mul_f16_e32 v95, 0x3abb, v95
	v_fma_f16 v93, v93, s17, -v96
	v_add_f16_e32 v128, v128, v130
	v_fma_f16 v130, v97, s16, v95
	v_add_f16_e32 v91, v93, v91
	v_fma_f16 v93, v97, s18, v95
	v_add_f16_e32 v95, v101, v94
	v_sub_f16_e32 v94, v101, v94
	v_add_f16_e32 v27, v93, v27
	v_add_f16_e32 v93, v149, v92
	v_mul_f16_e32 v96, 0xbbeb, v94
	v_fma_f16 v97, v93, s15, v96
	v_sub_f16_e32 v92, v149, v92
	v_add_f16_e32 v97, v97, v99
	v_mul_f16_e32 v99, 0xb08e, v95
	v_fma_f16 v96, v93, s15, -v96
	v_fma_f16 v101, v92, s19, v99
	v_add_f16_e32 v96, v96, v98
	v_fma_f16 v98, v92, s5, v99
	v_mul_f16_e32 v99, 0x3482, v94
	v_add_f16_e32 v98, v98, v100
	v_fma_f16 v100, v93, s24, v99
	v_add_f16_e32 v100, v100, v103
	v_mul_f16_e32 v103, 0xbbad, v95
	v_fma_f16 v99, v93, s24, -v99
	v_add_f16_e32 v101, v101, v104
	v_fma_f16 v104, v92, s23, v103
	v_add_f16_e32 v99, v99, v102
	v_fma_f16 v102, v92, s25, v103
	v_mul_f16_e32 v103, 0x3b47, v94
	v_add_f16_e32 v102, v102, v105
	v_fma_f16 v105, v93, s7, v103
	v_add_f16_e32 v105, v105, v122
	v_mul_f16_e32 v122, 0x36a6, v95
	v_fma_f16 v103, v93, s7, -v103
	v_add_f16_e32 v104, v104, v123
	v_fma_f16 v123, v92, s6, v122
	v_add_f16_e32 v103, v103, v121
	v_fma_f16 v121, v92, s14, v122
	v_mul_f16_e32 v122, 0xb853, v94
	v_add_f16_e32 v121, v121, v124
	v_fma_f16 v124, v93, s17, v122
	v_add_f16_e32 v124, v124, v126
	v_mul_f16_e32 v126, 0x3abb, v95
	v_fma_f16 v122, v93, s17, -v122
	v_mul_f16_e32 v94, 0xba0c, v94
	v_add_f16_e32 v123, v123, v127
	v_fma_f16 v127, v92, s18, v126
	v_add_f16_e32 v122, v122, v125
	v_fma_f16 v125, v92, s16, v126
	v_fma_f16 v126, v93, s21, v94
	v_mul_f16_e32 v95, 0xb93d, v95
	v_fma_f16 v93, v93, s21, -v94
	v_add_f16_e32 v125, v125, v128
	v_fma_f16 v128, v92, s22, v95
	v_add_f16_e32 v91, v93, v91
	v_fma_f16 v92, v92, s20, v95
	v_add_f16_e32 v93, v88, v90
	v_sub_f16_e32 v88, v88, v90
	v_add_f16_e32 v27, v92, v27
	v_add_f16_e32 v92, v87, v89
	v_sub_f16_e32 v87, v87, v89
	v_mul_f16_e32 v89, 0xba0c, v88
	v_fma_f16 v90, v92, s21, v89
	v_fma_f16 v89, v92, s21, -v89
	v_mul_f16_e32 v94, 0xb93d, v93
	v_add_f16_e32 v89, v89, v96
	v_mul_f16_e32 v96, 0x3beb, v88
	v_add_f16_e32 v90, v90, v97
	v_fma_f16 v95, v87, s22, v94
	v_fma_f16 v94, v87, s20, v94
	;; [unrolled: 1-line block ×3, first 2 shown]
	v_fma_f16 v96, v92, s15, -v96
	v_add_f16_e32 v94, v94, v98
	v_mul_f16_e32 v98, 0xb08e, v93
	v_add_f16_e32 v96, v96, v99
	v_mul_f16_e32 v99, 0xb853, v88
	v_add_f16_e32 v95, v95, v101
	v_add_f16_e32 v97, v97, v100
	v_fma_f16 v100, v87, s5, v98
	v_fma_f16 v98, v87, s19, v98
	;; [unrolled: 1-line block ×3, first 2 shown]
	v_fma_f16 v99, v92, s17, -v99
	v_add_f16_e32 v98, v98, v102
	v_mul_f16_e32 v102, 0x3abb, v93
	v_add_f16_e32 v99, v99, v103
	v_mul_f16_e32 v103, 0xb482, v88
	v_add_f16_e32 v100, v100, v104
	v_add_f16_e32 v101, v101, v105
	v_fma_f16 v104, v87, s18, v102
	v_fma_f16 v102, v87, s16, v102
	;; [unrolled: 1-line block ×3, first 2 shown]
	v_fma_f16 v103, v92, s24, -v103
	v_mul_f16_e32 v88, 0x3b47, v88
	v_add_f16_e32 v102, v102, v121
	v_mul_f16_e32 v121, 0xbbad, v93
	v_add_f16_e32 v103, v103, v122
	v_fma_f16 v122, v92, s7, v88
	v_mul_f16_e32 v93, 0x36a6, v93
	v_fma_f16 v88, v92, s7, -v88
	v_add_f16_e32 v104, v104, v123
	v_add_f16_e32 v105, v105, v124
	v_fma_f16 v123, v87, s25, v121
	v_fma_f16 v121, v87, s23, v121
	;; [unrolled: 1-line block ×3, first 2 shown]
	v_add_f16_e32 v88, v88, v91
	v_fma_f16 v87, v87, s14, v93
	v_add_f16_e32 v91, v47, v82
	v_sub_f16_e32 v47, v47, v82
	v_add_f16_e32 v27, v87, v27
	v_add_f16_e32 v87, v45, v81
	v_sub_f16_e32 v45, v45, v81
	v_mul_f16_e32 v81, 0xb482, v47
	v_fma_f16 v82, v87, s24, v81
	v_add_f16_e32 v82, v82, v90
	v_mul_f16_e32 v90, 0xbbad, v91
	v_fma_f16 v81, v87, s24, -v81
	v_fma_f16 v92, v45, s25, v90
	v_add_f16_e32 v81, v81, v89
	v_fma_f16 v89, v45, s23, v90
	v_mul_f16_e32 v90, 0x3853, v47
	v_add_f16_e32 v89, v89, v94
	v_fma_f16 v93, v87, s17, v90
	v_mul_f16_e32 v94, 0x3abb, v91
	v_fma_f16 v90, v87, s17, -v90
	v_add_f16_e32 v92, v92, v95
	v_fma_f16 v95, v45, s16, v94
	v_add_f16_e32 v90, v90, v96
	v_fma_f16 v94, v45, s18, v94
	v_mul_f16_e32 v96, 0xba0c, v47
	v_add_f16_e32 v93, v93, v97
	v_add_f16_e32 v94, v94, v98
	v_fma_f16 v97, v87, s21, v96
	v_mul_f16_e32 v98, 0xb93d, v91
	v_fma_f16 v96, v87, s21, -v96
	v_add_f16_e32 v95, v95, v100
	v_fma_f16 v100, v45, s22, v98
	v_add_f16_e32 v96, v96, v99
	v_fma_f16 v98, v45, s20, v98
	v_mul_f16_e32 v99, 0x3b47, v47
	v_add_f16_e32 v97, v97, v101
	v_add_f16_e32 v98, v98, v102
	v_fma_f16 v101, v87, s7, v99
	v_mul_f16_e32 v102, 0x36a6, v91
	v_mul_f16_e32 v91, 0xb08e, v91
	v_add_f16_e32 v100, v100, v104
	v_add_f16_e32 v101, v101, v105
	v_fma_f16 v104, v45, s6, v102
	v_fma_f16 v102, v45, s14, v102
	;; [unrolled: 1-line block ×4, first 2 shown]
	v_fma_f16 v99, v87, s7, -v99
	v_mul_f16_e32 v47, 0xbbeb, v47
	v_add_f16_e32 v27, v45, v27
	v_add_f16_e32 v45, v24, v30
	;; [unrolled: 1-line block ×3, first 2 shown]
	v_fma_f16 v103, v87, s15, v47
	v_fma_f16 v47, v87, s15, -v47
	v_add_f16_sdwa v87, v24, v31 dst_sel:DWORD dst_unused:UNUSED_PAD src0_sel:WORD_1 src1_sel:DWORD
	v_add_f16_e32 v45, v45, v28
	v_add_f16_e32 v87, v87, v29
	v_add_f16_e32 v45, v45, v25
	v_add_f16_e32 v87, v87, v10
	v_add_f16_e32 v45, v45, v6
	v_add_f16_e32 v87, v87, v7
	v_add_f16_e32 v45, v45, v2
	v_add_f16_e32 v87, v87, v3
	v_add_f16_e32 v45, v45, v4
	v_add_f16_e32 v131, v134, v131
	v_add_f16_e32 v87, v87, v5
	v_add_f16_e32 v45, v45, v8
	v_add_f16_e32 v129, v129, v132
	v_add_f16_e32 v130, v130, v133
	v_add_f16_e32 v127, v127, v131
	v_add_f16_e32 v87, v87, v9
	v_add_f16_e32 v45, v45, v11
	v_add_f16_e32 v126, v126, v129
	v_add_f16_e32 v128, v128, v130
	v_add_f16_e32 v123, v123, v127
	v_add_f16_e32 v121, v121, v125
	v_add_f16_e32 v87, v87, v12
	v_add_f16_e32 v45, v45, v13
	v_add_f16_e32 v91, v31, v39
	v_sub_f16_e32 v31, v31, v39
	v_add_f16_e32 v122, v122, v126
	v_add_f16_e32 v124, v124, v128
	;; [unrolled: 1-line block ×8, first 2 shown]
	v_sub_f16_e32 v30, v30, v38
	v_mul_f16_e32 v38, 0xb853, v31
	v_mul_f16_e32 v121, 0x3abb, v91
	;; [unrolled: 1-line block ×10, first 2 shown]
	v_add_f16_e32 v103, v103, v122
	v_add_f16_e32 v105, v105, v124
	;; [unrolled: 1-line block ×3, first 2 shown]
	v_fma_f16 v39, v88, s17, v38
	v_fma_f16 v122, v30, s18, v121
	v_fma_f16 v38, v88, s17, -v38
	v_fma_f16 v121, v30, s16, v121
	v_fma_f16 v124, v88, s7, v123
	v_fma_f16 v126, v30, s14, v125
	v_fma_f16 v123, v88, s7, -v123
	v_fma_f16 v125, v30, s6, v125
	;; [unrolled: 4-line block ×5, first 2 shown]
	v_add_f16_e32 v88, v29, v14
	v_sub_f16_e32 v14, v29, v14
	v_add_f16_e32 v39, v24, v39
	v_add_f16_sdwa v122, v24, v122 dst_sel:DWORD dst_unused:UNUSED_PAD src0_sel:WORD_1 src1_sel:DWORD
	v_add_f16_e32 v38, v24, v38
	v_add_f16_sdwa v121, v24, v121 dst_sel:DWORD dst_unused:UNUSED_PAD src0_sel:WORD_1 src1_sel:DWORD
	;; [unrolled: 2-line block ×10, first 2 shown]
	v_add_f16_e32 v30, v28, v13
	v_sub_f16_e32 v13, v28, v13
	v_mul_f16_e32 v28, 0xbb47, v14
	v_fma_f16 v29, v30, s7, v28
	v_add_f16_e32 v29, v29, v39
	v_mul_f16_e32 v39, 0x36a6, v88
	v_fma_f16 v28, v30, s7, -v28
	v_fma_f16 v91, v13, s14, v39
	v_add_f16_e32 v28, v28, v38
	v_fma_f16 v38, v13, s6, v39
	v_mul_f16_e32 v39, 0xba0c, v14
	v_add_f16_e32 v91, v91, v122
	v_add_f16_e32 v38, v38, v121
	v_fma_f16 v121, v30, s21, v39
	v_mul_f16_e32 v122, 0xb93d, v88
	v_fma_f16 v39, v30, s21, -v39
	v_add_f16_e32 v121, v121, v124
	v_fma_f16 v124, v13, s22, v122
	v_add_f16_e32 v39, v39, v123
	v_fma_f16 v122, v13, s20, v122
	v_mul_f16_e32 v123, 0x3482, v14
	v_add_f16_e32 v124, v124, v126
	v_add_f16_e32 v122, v122, v125
	v_fma_f16 v125, v30, s24, v123
	v_mul_f16_e32 v126, 0xbbad, v88
	v_fma_f16 v123, v30, s24, -v123
	v_add_f16_e32 v125, v125, v128
	v_fma_f16 v128, v13, s23, v126
	v_add_f16_e32 v123, v123, v127
	v_fma_f16 v126, v13, s25, v126
	v_mul_f16_e32 v127, 0x3beb, v14
	v_add_f16_e32 v128, v128, v130
	v_add_f16_e32 v126, v126, v129
	v_fma_f16 v129, v30, s15, v127
	v_mul_f16_e32 v130, 0xb08e, v88
	v_add_f16_e32 v129, v129, v132
	v_fma_f16 v132, v13, s5, v130
	v_fma_f16 v127, v30, s15, -v127
	v_fma_f16 v130, v13, s19, v130
	v_mul_f16_e32 v14, 0x3853, v14
	v_mul_f16_e32 v88, 0x3abb, v88
	v_add_f16_e32 v127, v127, v131
	v_add_f16_e32 v130, v130, v133
	v_fma_f16 v131, v30, s17, v14
	v_fma_f16 v133, v13, s16, v88
	v_fma_f16 v14, v30, s17, -v14
	v_fma_f16 v13, v13, s18, v88
	v_add_f16_e32 v30, v10, v12
	v_sub_f16_e32 v10, v10, v12
	v_add_f16_e32 v13, v13, v24
	v_add_f16_e32 v24, v25, v11
	v_mul_f16_e32 v12, 0xbbeb, v10
	v_sub_f16_e32 v11, v25, v11
	v_fma_f16 v25, v24, s15, v12
	v_add_f16_e32 v25, v25, v29
	v_mul_f16_e32 v29, 0xb08e, v30
	v_fma_f16 v12, v24, s15, -v12
	v_add_f16_e32 v14, v14, v31
	v_fma_f16 v31, v11, s19, v29
	v_add_f16_e32 v12, v12, v28
	v_fma_f16 v28, v11, s5, v29
	v_mul_f16_e32 v29, 0x3482, v10
	v_add_f16_e32 v28, v28, v38
	v_fma_f16 v38, v24, s24, v29
	v_mul_f16_e32 v88, 0xbbad, v30
	v_fma_f16 v29, v24, s24, -v29
	v_add_f16_e32 v31, v31, v91
	v_fma_f16 v91, v11, s23, v88
	v_add_f16_e32 v29, v29, v39
	v_fma_f16 v39, v11, s25, v88
	v_mul_f16_e32 v88, 0x3b47, v10
	v_add_f16_e32 v38, v38, v121
	v_fma_f16 v121, v24, s7, v88
	v_fma_f16 v88, v24, s7, -v88
	v_add_f16_e32 v39, v39, v122
	v_mul_f16_e32 v122, 0x36a6, v30
	v_add_f16_e32 v88, v88, v123
	v_mul_f16_e32 v123, 0xb853, v10
	v_add_f16_e32 v91, v91, v124
	v_add_f16_e32 v121, v121, v125
	v_fma_f16 v124, v11, s6, v122
	v_fma_f16 v122, v11, s14, v122
	;; [unrolled: 1-line block ×3, first 2 shown]
	v_fma_f16 v123, v24, s17, -v123
	v_mul_f16_e32 v10, 0xba0c, v10
	v_add_f16_e32 v122, v122, v126
	v_mul_f16_e32 v126, 0x3abb, v30
	v_add_f16_e32 v123, v123, v127
	v_fma_f16 v127, v24, s21, v10
	v_mul_f16_e32 v30, 0xb93d, v30
	v_fma_f16 v10, v24, s21, -v10
	v_add_f16_e32 v124, v124, v128
	v_add_f16_e32 v125, v125, v129
	v_fma_f16 v128, v11, s18, v126
	v_fma_f16 v126, v11, s16, v126
	;; [unrolled: 1-line block ×3, first 2 shown]
	v_add_f16_e32 v10, v10, v14
	v_fma_f16 v11, v11, s20, v30
	v_add_f16_e32 v14, v7, v9
	v_sub_f16_e32 v7, v7, v9
	v_add_f16_e32 v11, v11, v13
	v_add_f16_e32 v13, v6, v8
	v_sub_f16_e32 v6, v6, v8
	v_mul_f16_e32 v8, 0xba0c, v7
	v_fma_f16 v9, v13, s21, v8
	v_mul_f16_e32 v24, 0xb93d, v14
	v_fma_f16 v8, v13, s21, -v8
	v_add_f16_e32 v9, v9, v25
	v_fma_f16 v25, v6, s22, v24
	v_add_f16_e32 v8, v8, v12
	v_fma_f16 v12, v6, s20, v24
	v_mul_f16_e32 v24, 0x3beb, v7
	v_add_f16_e32 v12, v12, v28
	v_fma_f16 v28, v13, s15, v24
	v_mul_f16_e32 v30, 0xb08e, v14
	v_fma_f16 v24, v13, s15, -v24
	v_add_f16_e32 v25, v25, v31
	v_fma_f16 v31, v6, s5, v30
	v_add_f16_e32 v24, v24, v29
	v_fma_f16 v29, v6, s19, v30
	v_mul_f16_e32 v30, 0xb853, v7
	v_add_f16_e32 v0, v0, v144
	v_add_f16_e32 v28, v28, v38
	;; [unrolled: 1-line block ×3, first 2 shown]
	v_fma_f16 v38, v13, s17, v30
	v_mul_f16_e32 v39, 0x3abb, v14
	v_fma_f16 v30, v13, s17, -v30
	v_add_f16_e32 v0, v0, v145
	v_add_f16_e32 v31, v31, v91
	v_fma_f16 v91, v6, s18, v39
	v_add_f16_e32 v30, v30, v88
	v_fma_f16 v39, v6, s16, v39
	v_mul_f16_e32 v88, 0xb482, v7
	v_add_f16_e32 v0, v0, v146
	v_add_f16_e32 v38, v38, v121
	;; [unrolled: 1-line block ×3, first 2 shown]
	v_fma_f16 v121, v13, s24, v88
	v_mul_f16_e32 v122, 0xbbad, v14
	v_mul_f16_e32 v14, 0x36a6, v14
	v_add_f16_e32 v91, v91, v124
	v_add_f16_e32 v121, v121, v125
	v_fma_f16 v124, v6, s25, v122
	v_fma_f16 v88, v13, s24, -v88
	v_fma_f16 v122, v6, s23, v122
	v_mul_f16_e32 v7, 0x3b47, v7
	v_fma_f16 v125, v6, s6, v14
	v_fma_f16 v6, v6, s14, v14
	v_pack_b32_f16 v0, v0, v1
	v_pack_b32_f16 v1, v32, v33
	v_add_f16_e32 v88, v88, v123
	v_fma_f16 v123, v13, s7, v7
	v_fma_f16 v7, v13, s7, -v7
	v_add_f16_e32 v6, v6, v11
	v_add_f16_e32 v11, v3, v5
	v_sub_f16_e32 v3, v3, v5
	s_waitcnt lgkmcnt(0)
	; wave barrier
	ds_write2_b32 v16, v0, v1 offset1:51
	v_pack_b32_f16 v0, v36, v37
	v_pack_b32_f16 v1, v42, v43
	v_add_f16_e32 v7, v7, v10
	v_add_f16_e32 v10, v2, v4
	v_sub_f16_e32 v2, v2, v4
	v_mul_f16_e32 v4, 0xb482, v3
	ds_write2_b32 v16, v0, v1 offset0:102 offset1:153
	v_pack_b32_f16 v0, v44, v48
	v_pack_b32_f16 v1, v50, v51
	v_fma_f16 v5, v10, s24, v4
	ds_write2_b32 v16, v0, v1 offset0:204 offset1:255
	v_pack_b32_f16 v0, v83, v84
	v_pack_b32_f16 v1, v46, v49
	v_add_f16_e32 v5, v5, v9
	v_mul_f16_e32 v9, 0xbbad, v11
	v_fma_f16 v4, v10, s24, -v4
	ds_write2_b32 v80, v0, v1 offset0:50 offset1:101
	v_pack_b32_f16 v0, v40, v41
	v_pack_b32_f16 v1, v34, v35
	v_fma_f16 v13, v2, s25, v9
	v_add_f16_e32 v4, v4, v8
	v_fma_f16 v8, v2, s23, v9
	v_mul_f16_e32 v9, 0x3853, v3
	ds_write2_b32 v80, v0, v1 offset0:152 offset1:203
	v_pack_b32_f16 v0, v15, v26
	v_pack_b32_f16 v1, v85, v86
	v_add_f16_e32 v8, v8, v12
	v_fma_f16 v12, v10, s17, v9
	v_mul_f16_e32 v14, 0x3abb, v11
	v_fma_f16 v9, v10, s17, -v9
	ds_write2_b32 v77, v0, v1 offset0:126 offset1:177
	v_pack_b32_f16 v0, v82, v92
	v_pack_b32_f16 v1, v93, v95
	v_add_f16_e32 v13, v13, v25
	v_fma_f16 v25, v2, s16, v14
	v_add_f16_e32 v9, v9, v24
	v_fma_f16 v14, v2, s18, v14
	v_mul_f16_e32 v24, 0xba0c, v3
	ds_write2_b32 v76, v0, v1 offset0:100 offset1:151
	v_pack_b32_f16 v0, v97, v100
	v_pack_b32_f16 v1, v101, v104
	v_add_f16_e32 v12, v12, v28
	v_add_f16_e32 v14, v14, v29
	v_fma_f16 v28, v10, s21, v24
	v_mul_f16_e32 v29, 0xb93d, v11
	v_fma_f16 v24, v10, s21, -v24
	ds_write2_b32 v76, v0, v1 offset0:202 offset1:253
	v_pack_b32_f16 v0, v103, v105
	v_pack_b32_f16 v1, v47, v27
	v_add_f16_e32 v132, v132, v134
	v_add_f16_e32 v131, v131, v136
	;; [unrolled: 1-line block ×4, first 2 shown]
	v_fma_f16 v31, v2, s22, v29
	v_add_f16_e32 v24, v24, v30
	v_fma_f16 v29, v2, s20, v29
	v_mul_f16_e32 v30, 0x3b47, v3
	ds_write2_b32 v75, v0, v1 offset0:48 offset1:99
	v_pack_b32_f16 v0, v99, v102
	v_pack_b32_f16 v1, v96, v98
	v_add_f16_e32 v128, v128, v132
	v_add_f16_e32 v127, v127, v131
	;; [unrolled: 1-line block ×5, first 2 shown]
	v_fma_f16 v38, v10, s7, v30
	v_mul_f16_e32 v39, 0x36a6, v11
	v_fma_f16 v30, v10, s7, -v30
	v_mul_f16_e32 v3, 0xbbeb, v3
	v_mul_f16_e32 v11, 0xb08e, v11
	ds_write2_b32 v75, v0, v1 offset0:150 offset1:201
	v_pack_b32_f16 v0, v90, v94
	v_pack_b32_f16 v1, v81, v89
	v_add_f16_e32 v126, v126, v130
	v_add_f16_e32 v124, v124, v128
	;; [unrolled: 1-line block ×6, first 2 shown]
	v_fma_f16 v91, v2, s6, v39
	v_add_f16_e32 v30, v30, v88
	v_fma_f16 v88, v10, s15, v3
	v_fma_f16 v121, v2, s19, v11
	ds_write2_b32 v79, v0, v1 offset0:124 offset1:175
	v_pack_b32_f16 v0, v45, v87
	v_pack_b32_f16 v1, v5, v13
	v_add_u32_e32 v5, 0x1000, v135
	v_add_f16_e32 v122, v122, v126
	v_add_f16_e32 v91, v91, v124
	v_fma_f16 v39, v2, s14, v39
	v_add_f16_e32 v88, v88, v123
	v_add_f16_e32 v121, v121, v125
	v_fma_f16 v3, v10, s15, -v3
	v_fma_f16 v2, v2, s5, v11
	ds_write2_b32 v5, v0, v1 offset0:98 offset1:149
	v_pack_b32_f16 v0, v12, v25
	v_pack_b32_f16 v1, v28, v31
	v_add_f16_e32 v39, v39, v122
	v_add_f16_e32 v3, v3, v7
	;; [unrolled: 1-line block ×3, first 2 shown]
	ds_write2_b32 v5, v0, v1 offset0:200 offset1:251
	v_pack_b32_f16 v0, v38, v91
	v_pack_b32_f16 v1, v88, v121
	v_add_u32_e32 v5, 0x1400, v135
	ds_write2_b32 v5, v0, v1 offset0:46 offset1:97
	v_pack_b32_f16 v0, v3, v2
	v_pack_b32_f16 v1, v30, v39
	ds_write2_b32 v5, v0, v1 offset0:148 offset1:199
	v_pack_b32_f16 v0, v24, v29
	v_pack_b32_f16 v1, v9, v14
	v_add_u32_e32 v2, 0x1600, v135
	ds_write2_b32 v2, v0, v1 offset0:122 offset1:173
	v_pack_b32_f16 v0, v4, v8
	ds_write_b32 v135, v0 offset:6528
	s_waitcnt lgkmcnt(0)
	; wave barrier
	s_waitcnt lgkmcnt(0)
	ds_read2_b32 v[4:5], v16 offset1:51
	ds_read2_b32 v[2:3], v77 offset0:126 offset1:177
	ds_read2_b32 v[6:7], v74 offset0:98 offset1:149
	;; [unrolled: 1-line block ×5, first 2 shown]
	s_waitcnt lgkmcnt(4)
	v_lshrrev_b32_e32 v42, 16, v3
	v_mul_f16_sdwa v104, v52, v42 dst_sel:DWORD dst_unused:UNUSED_PAD src0_sel:WORD_1 src1_sel:DWORD
	s_waitcnt lgkmcnt(3)
	v_lshrrev_b32_e32 v43, 16, v6
	v_fma_f16 v104, v52, v3, v104
	v_mul_f16_sdwa v3, v52, v3 dst_sel:DWORD dst_unused:UNUSED_PAD src0_sel:WORD_1 src1_sel:DWORD
	v_fma_f16 v3, v52, v42, -v3
	v_mul_f16_sdwa v42, v53, v43 dst_sel:DWORD dst_unused:UNUSED_PAD src0_sel:WORD_1 src1_sel:DWORD
	s_waitcnt lgkmcnt(2)
	v_lshrrev_b32_e32 v45, 16, v8
	v_fma_f16 v42, v53, v6, v42
	v_mul_f16_sdwa v6, v53, v6 dst_sel:DWORD dst_unused:UNUSED_PAD src0_sel:WORD_1 src1_sel:DWORD
	v_fma_f16 v6, v53, v43, -v6
	v_mul_f16_sdwa v43, v54, v45 dst_sel:DWORD dst_unused:UNUSED_PAD src0_sel:WORD_1 src1_sel:DWORD
	v_lshrrev_b32_e32 v46, 16, v7
	v_fma_f16 v43, v54, v8, v43
	v_mul_f16_sdwa v8, v54, v8 dst_sel:DWORD dst_unused:UNUSED_PAD src0_sel:WORD_1 src1_sel:DWORD
	v_fma_f16 v8, v54, v45, -v8
	v_mul_f16_sdwa v45, v55, v46 dst_sel:DWORD dst_unused:UNUSED_PAD src0_sel:WORD_1 src1_sel:DWORD
	;; [unrolled: 5-line block ×3, first 2 shown]
	s_waitcnt lgkmcnt(1)
	v_lshrrev_b32_e32 v49, 16, v12
	ds_read2_b32 v[26:27], v78 offset0:46 offset1:97
	ds_read2_b32 v[34:35], v75 offset0:150 offset1:201
	v_fma_f16 v46, v56, v9, v46
	v_mul_f16_sdwa v9, v56, v9 dst_sel:DWORD dst_unused:UNUSED_PAD src0_sel:WORD_1 src1_sel:DWORD
	ds_read2_b32 v[32:33], v78 offset0:148 offset1:199
	v_fma_f16 v9, v56, v48, -v9
	v_mul_f16_sdwa v48, v57, v49 dst_sel:DWORD dst_unused:UNUSED_PAD src0_sel:WORD_1 src1_sel:DWORD
	s_waitcnt lgkmcnt(3)
	v_lshrrev_b32_e32 v51, 16, v14
	ds_read2_b32 v[38:39], v19 offset0:122 offset1:173
	v_fma_f16 v48, v57, v12, v48
	v_mul_f16_sdwa v12, v57, v12 dst_sel:DWORD dst_unused:UNUSED_PAD src0_sel:WORD_1 src1_sel:DWORD
	ds_read2_b32 v[28:29], v75 offset0:48 offset1:99
	v_lshrrev_b32_e32 v83, 16, v15
	v_fma_f16 v12, v57, v49, -v12
	v_mul_f16_sdwa v49, v58, v51 dst_sel:DWORD dst_unused:UNUSED_PAD src0_sel:WORD_1 src1_sel:DWORD
	v_lshrrev_b32_e32 v81, 16, v13
	v_fma_f16 v49, v58, v14, v49
	v_mul_f16_sdwa v14, v58, v14 dst_sel:DWORD dst_unused:UNUSED_PAD src0_sel:WORD_1 src1_sel:DWORD
	v_mul_f16_sdwa v52, v60, v83 dst_sel:DWORD dst_unused:UNUSED_PAD src0_sel:WORD_1 src1_sel:DWORD
	s_waitcnt lgkmcnt(4)
	v_lshrrev_b32_e32 v84, 16, v26
	ds_read2_b32 v[40:41], v79 offset0:124 offset1:175
	s_waitcnt lgkmcnt(4)
	v_lshrrev_b32_e32 v95, 16, v35
	v_fma_f16 v14, v58, v51, -v14
	v_mul_f16_sdwa v51, v59, v81 dst_sel:DWORD dst_unused:UNUSED_PAD src0_sel:WORD_1 src1_sel:DWORD
	v_fma_f16 v52, v60, v15, v52
	v_mul_f16_sdwa v15, v60, v15 dst_sel:DWORD dst_unused:UNUSED_PAD src0_sel:WORD_1 src1_sel:DWORD
	s_waitcnt lgkmcnt(3)
	v_lshrrev_b32_e32 v93, 16, v33
	v_fma_f16 v51, v59, v13, v51
	v_mul_f16_sdwa v13, v59, v13 dst_sel:DWORD dst_unused:UNUSED_PAD src0_sel:WORD_1 src1_sel:DWORD
	v_fma_f16 v15, v60, v83, -v15
	v_mul_f16_sdwa v53, v61, v84 dst_sel:DWORD dst_unused:UNUSED_PAD src0_sel:WORD_1 src1_sel:DWORD
	v_mul_f16_sdwa v60, v68, v95 dst_sel:DWORD dst_unused:UNUSED_PAD src0_sel:WORD_1 src1_sel:DWORD
	s_waitcnt lgkmcnt(2)
	v_lshrrev_b32_e32 v96, 16, v38
	v_fma_f16 v13, v59, v81, -v13
	v_fma_f16 v53, v61, v26, v53
	v_mul_f16_sdwa v26, v61, v26 dst_sel:DWORD dst_unused:UNUSED_PAD src0_sel:WORD_1 src1_sel:DWORD
	v_mul_f16_sdwa v59, v67, v93 dst_sel:DWORD dst_unused:UNUSED_PAD src0_sel:WORD_1 src1_sel:DWORD
	v_fma_f16 v60, v68, v35, v60
	v_mul_f16_sdwa v35, v68, v35 dst_sel:DWORD dst_unused:UNUSED_PAD src0_sel:WORD_1 src1_sel:DWORD
	s_waitcnt lgkmcnt(1)
	v_lshrrev_b32_e32 v86, 16, v28
	v_fma_f16 v26, v61, v84, -v26
	v_fma_f16 v59, v67, v33, v59
	v_mul_f16_sdwa v33, v67, v33 dst_sel:DWORD dst_unused:UNUSED_PAD src0_sel:WORD_1 src1_sel:DWORD
	v_fma_f16 v35, v68, v95, -v35
	v_mul_f16_sdwa v61, v69, v96 dst_sel:DWORD dst_unused:UNUSED_PAD src0_sel:WORD_1 src1_sel:DWORD
	v_add_f16_e32 v68, v104, v42
	v_lshrrev_b32_e32 v1, 16, v4
	v_mul_f16_sdwa v54, v62, v86 dst_sel:DWORD dst_unused:UNUSED_PAD src0_sel:WORD_1 src1_sel:DWORD
	v_fma_f16 v33, v67, v93, -v33
	v_fma_f16 v61, v69, v38, v61
	v_mul_f16_sdwa v38, v69, v38 dst_sel:DWORD dst_unused:UNUSED_PAD src0_sel:WORD_1 src1_sel:DWORD
	v_add_f16_e32 v67, v4, v104
	v_fma_f16 v4, v68, -0.5, v4
	v_sub_f16_e32 v68, v3, v6
	s_waitcnt lgkmcnt(0)
	v_lshrrev_b32_e32 v99, 16, v40
	v_fma_f16 v54, v62, v28, v54
	v_mul_f16_sdwa v28, v62, v28 dst_sel:DWORD dst_unused:UNUSED_PAD src0_sel:WORD_1 src1_sel:DWORD
	v_fma_f16 v38, v69, v96, -v38
	v_fma_f16 v69, v68, s0, v4
	v_fma_f16 v4, v68, s1, v4
	v_add_f16_e32 v68, v1, v3
	v_add_f16_e32 v3, v3, v6
	ds_read2_b32 v[10:11], v16 offset0:102 offset1:153
	v_fma_f16 v28, v62, v86, -v28
	v_mul_f16_sdwa v62, v70, v99 dst_sel:DWORD dst_unused:UNUSED_PAD src0_sel:WORD_1 src1_sel:DWORD
	v_add_f16_e32 v67, v67, v42
	v_fma_f16 v1, v3, -0.5, v1
	v_sub_f16_e32 v3, v104, v42
	v_add_f16_e32 v42, v43, v45
	v_lshrrev_b32_e32 v44, 16, v5
	v_fma_f16 v62, v70, v40, v62
	v_mul_f16_sdwa v40, v70, v40 dst_sel:DWORD dst_unused:UNUSED_PAD src0_sel:WORD_1 src1_sel:DWORD
	v_add_f16_e32 v68, v68, v6
	v_fma_f16 v6, v3, s1, v1
	v_fma_f16 v1, v3, s0, v1
	v_add_f16_e32 v3, v5, v43
	v_fma_f16 v5, v42, -0.5, v5
	v_sub_f16_e32 v42, v8, v7
	v_fma_f16 v40, v70, v99, -v40
	v_fma_f16 v70, v42, s0, v5
	v_fma_f16 v5, v42, s1, v5
	v_add_f16_e32 v42, v44, v8
	v_add_f16_e32 v42, v42, v7
	v_add_f16_e32 v7, v8, v7
	v_fma_f16 v7, v7, -0.5, v44
	v_sub_f16_e32 v8, v43, v45
	v_add_f16_e32 v44, v46, v48
	s_waitcnt lgkmcnt(0)
	v_lshrrev_b32_e32 v47, 16, v10
	v_fma_f16 v43, v8, s1, v7
	v_fma_f16 v7, v8, s0, v7
	v_add_f16_e32 v8, v10, v46
	v_fma_f16 v10, v44, -0.5, v10
	v_sub_f16_e32 v44, v9, v12
	v_add_f16_e32 v3, v3, v45
	v_fma_f16 v45, v44, s0, v10
	v_fma_f16 v10, v44, s1, v10
	v_add_f16_e32 v44, v47, v9
	v_add_f16_e32 v9, v9, v12
	ds_read2_b32 v[24:25], v16 offset0:204 offset1:255
	v_add_f16_e32 v44, v44, v12
	v_fma_f16 v9, v9, -0.5, v47
	v_sub_f16_e32 v12, v46, v48
	v_add_f16_e32 v47, v49, v51
	v_lshrrev_b32_e32 v50, 16, v11
	v_fma_f16 v46, v12, s1, v9
	v_fma_f16 v9, v12, s0, v9
	v_add_f16_e32 v12, v11, v49
	v_fma_f16 v11, v47, -0.5, v11
	v_sub_f16_e32 v47, v14, v13
	v_add_f16_e32 v8, v8, v48
	v_fma_f16 v48, v47, s0, v11
	v_fma_f16 v11, v47, s1, v11
	v_add_f16_e32 v47, v50, v14
	v_add_f16_e32 v47, v47, v13
	;; [unrolled: 1-line block ×3, first 2 shown]
	v_lshrrev_b32_e32 v87, 16, v27
	v_fma_f16 v13, v13, -0.5, v50
	v_sub_f16_e32 v14, v49, v51
	v_add_f16_e32 v50, v52, v53
	s_waitcnt lgkmcnt(0)
	v_lshrrev_b32_e32 v82, 16, v24
	v_mul_f16_sdwa v55, v63, v87 dst_sel:DWORD dst_unused:UNUSED_PAD src0_sel:WORD_1 src1_sel:DWORD
	v_fma_f16 v49, v14, s1, v13
	v_fma_f16 v13, v14, s0, v13
	v_add_f16_e32 v14, v24, v52
	v_fma_f16 v24, v50, -0.5, v24
	v_sub_f16_e32 v50, v15, v26
	v_lshrrev_b32_e32 v100, 16, v39
	v_fma_f16 v55, v63, v27, v55
	v_mul_f16_sdwa v27, v63, v27 dst_sel:DWORD dst_unused:UNUSED_PAD src0_sel:WORD_1 src1_sel:DWORD
	v_add_f16_e32 v12, v12, v51
	v_fma_f16 v51, v50, s0, v24
	v_fma_f16 v24, v50, s1, v24
	v_add_f16_e32 v50, v82, v15
	v_add_f16_e32 v15, v15, v26
	ds_read2_b32 v[30:31], v80 offset0:50 offset1:101
	v_fma_f16 v27, v63, v87, -v27
	v_mul_f16_sdwa v63, v71, v100 dst_sel:DWORD dst_unused:UNUSED_PAD src0_sel:WORD_1 src1_sel:DWORD
	v_add_f16_e32 v14, v14, v53
	v_add_f16_e32 v50, v50, v26
	v_fma_f16 v15, v15, -0.5, v82
	v_sub_f16_e32 v26, v52, v53
	v_add_f16_e32 v53, v54, v55
	v_lshrrev_b32_e32 v85, 16, v25
	v_lshrrev_b32_e32 v89, 16, v29
	;; [unrolled: 1-line block ×3, first 2 shown]
	v_fma_f16 v63, v71, v39, v63
	v_mul_f16_sdwa v39, v71, v39 dst_sel:DWORD dst_unused:UNUSED_PAD src0_sel:WORD_1 src1_sel:DWORD
	v_fma_f16 v52, v26, s1, v15
	v_fma_f16 v15, v26, s0, v15
	v_add_f16_e32 v26, v25, v54
	v_fma_f16 v25, v53, -0.5, v25
	v_sub_f16_e32 v53, v28, v27
	ds_read_b32 v98, v16 offset:6528
	v_mul_f16_sdwa v56, v64, v89 dst_sel:DWORD dst_unused:UNUSED_PAD src0_sel:WORD_1 src1_sel:DWORD
	v_mul_f16_sdwa v57, v65, v90 dst_sel:DWORD dst_unused:UNUSED_PAD src0_sel:WORD_1 src1_sel:DWORD
	v_fma_f16 v39, v71, v100, -v39
	v_fma_f16 v71, v53, s0, v25
	v_fma_f16 v25, v53, s1, v25
	v_add_f16_e32 v53, v85, v28
	v_lshrrev_b32_e32 v102, 16, v41
	v_fma_f16 v56, v64, v29, v56
	v_mul_f16_sdwa v29, v64, v29 dst_sel:DWORD dst_unused:UNUSED_PAD src0_sel:WORD_1 src1_sel:DWORD
	v_fma_f16 v57, v65, v32, v57
	v_mul_f16_sdwa v32, v65, v32 dst_sel:DWORD dst_unused:UNUSED_PAD src0_sel:WORD_1 src1_sel:DWORD
	v_add_f16_e32 v53, v53, v27
	v_add_f16_e32 v27, v28, v27
	v_lshrrev_b32_e32 v92, 16, v34
	v_fma_f16 v29, v64, v89, -v29
	v_fma_f16 v32, v65, v90, -v32
	v_mul_f16_sdwa v64, v72, v102 dst_sel:DWORD dst_unused:UNUSED_PAD src0_sel:WORD_1 src1_sel:DWORD
	v_add_f16_e32 v26, v26, v55
	v_fma_f16 v27, v27, -0.5, v85
	v_sub_f16_e32 v28, v54, v55
	v_add_f16_e32 v55, v56, v57
	s_waitcnt lgkmcnt(1)
	v_lshrrev_b32_e32 v88, 16, v30
	v_mul_f16_sdwa v58, v66, v92 dst_sel:DWORD dst_unused:UNUSED_PAD src0_sel:WORD_1 src1_sel:DWORD
	v_fma_f16 v64, v72, v41, v64
	v_mul_f16_sdwa v41, v72, v41 dst_sel:DWORD dst_unused:UNUSED_PAD src0_sel:WORD_1 src1_sel:DWORD
	v_fma_f16 v54, v28, s1, v27
	v_fma_f16 v27, v28, s0, v27
	v_add_f16_e32 v28, v30, v56
	v_fma_f16 v30, v55, -0.5, v30
	v_sub_f16_e32 v55, v29, v32
	v_fma_f16 v58, v66, v34, v58
	v_mul_f16_sdwa v34, v66, v34 dst_sel:DWORD dst_unused:UNUSED_PAD src0_sel:WORD_1 src1_sel:DWORD
	v_fma_f16 v41, v72, v102, -v41
	v_fma_f16 v72, v55, s0, v30
	v_fma_f16 v30, v55, s1, v30
	v_add_f16_e32 v55, v88, v29
	v_add_f16_e32 v29, v29, v32
	ds_read2_b32 v[36:37], v80 offset0:152 offset1:203
	s_waitcnt lgkmcnt(1)
	v_lshrrev_b32_e32 v103, 16, v98
	v_fma_f16 v34, v66, v92, -v34
	v_add_f16_e32 v28, v28, v57
	v_add_f16_e32 v55, v55, v32
	v_fma_f16 v29, v29, -0.5, v88
	v_sub_f16_e32 v32, v56, v57
	v_add_f16_e32 v57, v58, v59
	v_lshrrev_b32_e32 v91, 16, v31
	v_mul_f16_sdwa v65, v73, v103 dst_sel:DWORD dst_unused:UNUSED_PAD src0_sel:WORD_1 src1_sel:DWORD
	v_mul_f16_sdwa v66, v73, v98 dst_sel:DWORD dst_unused:UNUSED_PAD src0_sel:WORD_1 src1_sel:DWORD
	v_fma_f16 v56, v32, s1, v29
	v_fma_f16 v29, v32, s0, v29
	v_add_f16_e32 v32, v31, v58
	v_fma_f16 v31, v57, -0.5, v31
	v_sub_f16_e32 v57, v34, v33
	v_fma_f16 v65, v73, v98, v65
	v_fma_f16 v66, v73, v103, -v66
	v_fma_f16 v73, v57, s0, v31
	v_fma_f16 v31, v57, s1, v31
	v_add_f16_e32 v57, v91, v34
	v_add_f16_e32 v57, v57, v33
	;; [unrolled: 1-line block ×4, first 2 shown]
	v_fma_f16 v33, v33, -0.5, v91
	v_sub_f16_e32 v34, v58, v59
	v_add_f16_e32 v59, v60, v61
	s_waitcnt lgkmcnt(0)
	v_lshrrev_b32_e32 v94, 16, v36
	v_fma_f16 v58, v34, s1, v33
	v_fma_f16 v33, v34, s0, v33
	v_add_f16_e32 v34, v36, v60
	v_fma_f16 v36, v59, -0.5, v36
	v_sub_f16_e32 v59, v35, v38
	v_fma_f16 v81, v59, s0, v36
	v_fma_f16 v36, v59, s1, v36
	v_add_f16_e32 v59, v94, v35
	v_add_f16_e32 v35, v35, v38
	v_add_f16_e32 v34, v34, v61
	v_add_f16_e32 v59, v59, v38
	v_fma_f16 v35, v35, -0.5, v94
	v_sub_f16_e32 v38, v60, v61
	v_add_f16_e32 v61, v62, v63
	v_lshrrev_b32_e32 v97, 16, v37
	v_fma_f16 v60, v38, s1, v35
	v_fma_f16 v35, v38, s0, v35
	v_add_f16_e32 v38, v37, v62
	v_fma_f16 v37, v61, -0.5, v37
	v_sub_f16_e32 v61, v40, v39
	v_fma_f16 v82, v61, s0, v37
	v_fma_f16 v37, v61, s1, v37
	v_add_f16_e32 v61, v97, v40
	v_add_f16_e32 v61, v61, v39
	;; [unrolled: 1-line block ×4, first 2 shown]
	v_fma_f16 v39, v39, -0.5, v97
	v_sub_f16_e32 v40, v62, v63
	v_add_f16_e32 v63, v64, v65
	v_lshrrev_b32_e32 v101, 16, v2
	v_fma_f16 v62, v40, s1, v39
	v_fma_f16 v39, v40, s0, v39
	v_add_f16_e32 v40, v2, v64
	v_fma_f16 v2, v63, -0.5, v2
	v_sub_f16_e32 v63, v41, v66
	v_fma_f16 v83, v63, s0, v2
	v_fma_f16 v2, v63, s1, v2
	v_add_f16_e32 v63, v101, v41
	v_add_f16_e32 v41, v41, v66
	v_fma_f16 v41, v41, -0.5, v101
	v_sub_f16_e32 v64, v64, v65
	v_add_f16_e32 v40, v40, v65
	v_fma_f16 v65, v64, s1, v41
	v_fma_f16 v41, v64, s0, v41
	v_pack_b32_f16 v64, v67, v68
	v_pack_b32_f16 v1, v4, v1
	;; [unrolled: 1-line block ×4, first 2 shown]
	ds_write2_b32 v16, v64, v3 offset1:51
	v_pack_b32_f16 v3, v70, v43
	ds_write2_b32 v74, v1, v4 offset0:98 offset1:149
	v_pack_b32_f16 v4, v45, v46
	v_pack_b32_f16 v1, v8, v44
	ds_write2_b32 v76, v3, v4 offset0:100 offset1:151
	v_pack_b32_f16 v4, v12, v47
	;; [unrolled: 3-line block ×11, first 2 shown]
	v_add_f16_e32 v63, v63, v66
	v_pack_b32_f16 v1, v36, v35
	ds_write2_b32 v80, v3, v4 offset0:152 offset1:203
	v_pack_b32_f16 v4, v37, v39
	v_pack_b32_f16 v6, v69, v6
	ds_write2_b32 v19, v1, v4 offset0:122 offset1:173
	v_pack_b32_f16 v1, v40, v63
	;; [unrolled: 3-line block ×3, first 2 shown]
	ds_write2_b32 v79, v3, v1 offset0:124 offset1:175
	v_pack_b32_f16 v1, v2, v41
	ds_write_b32 v16, v1 offset:6528
	s_waitcnt lgkmcnt(0)
	; wave barrier
	s_waitcnt lgkmcnt(0)
	ds_read2_b32 v[2:3], v16 offset1:99
	v_mad_u64_u32 v[4:5], s[0:1], s10, v22, 0
	v_mov_b32_e32 v6, v5
	v_mad_u64_u32 v[6:7], s[0:1], s11, v22, v[6:7]
	s_waitcnt lgkmcnt(0)
	v_lshrrev_b32_e32 v8, 16, v2
	v_mul_f16_sdwa v5, v120, v8 dst_sel:DWORD dst_unused:UNUSED_PAD src0_sel:WORD_1 src1_sel:DWORD
	v_fma_f16 v5, v120, v2, v5
	v_cvt_f32_f16_e32 v9, v5
	s_mov_b32 s6, 0x87d568ce
	v_mov_b32_e32 v5, v6
	s_mov_b32 s7, 0x3f437851
	v_cvt_f64_f32_e32 v[6:7], v9
	v_mul_f64 v[6:7], v[6:7], s[6:7]
	s_movk_i32 s17, 0x1ff
	v_and_or_b32 v6, v7, s17, v6
	v_cmp_ne_u32_e64 s[0:1], 0, v6
	v_lshrrev_b32_e32 v9, 8, v7
	s_movk_i32 s16, 0xffe
	v_cndmask_b32_e64 v6, 0, 1, s[0:1]
	v_bfe_u32 v10, v7, 20, 11
	v_and_or_b32 v9, v9, s16, v6
	v_sub_u32_e32 v11, 0x3f1, v10
	v_or_b32_e32 v6, 0x1000, v9
	v_med3_i32 v11, v11, 0, 13
	v_lshrrev_b32_e32 v12, v11, v6
	v_lshlrev_b32_e32 v11, v11, v12
	v_cmp_ne_u32_e64 s[0:1], v11, v6
	v_add_u32_e32 v10, 0xfffffc10, v10
	v_lshl_or_b32 v11, v10, 12, v9
	v_cndmask_b32_e64 v6, 0, 1, s[0:1]
	v_or_b32_e32 v6, v12, v6
	v_cmp_gt_i32_e64 s[0:1], 1, v10
	v_mov_b32_e32 v0, s2
	v_mov_b32_e32 v1, s3
	v_cndmask_b32_e64 v6, v11, v6, s[0:1]
	v_and_b32_e32 v11, 7, v6
	v_cmp_lt_i32_e64 s[0:1], 5, v11
	v_cmp_eq_u32_e64 s[2:3], 3, v11
	v_lshrrev_b32_e32 v6, 2, v6
	s_or_b64 s[0:1], s[2:3], s[0:1]
	v_mul_f16_sdwa v2, v120, v2 dst_sel:DWORD dst_unused:UNUSED_PAD src0_sel:WORD_1 src1_sel:DWORD
	v_addc_co_u32_e64 v11, s[0:1], 0, v6, s[0:1]
	v_fma_f16 v2, v120, v8, -v2
	v_mov_b32_e32 v6, 0x7c00
	v_cmp_gt_i32_e64 s[0:1], 31, v10
	v_cvt_f32_f16_e32 v2, v2
	s_movk_i32 s14, 0x40f
	v_cndmask_b32_e64 v11, v6, v11, s[0:1]
	v_cmp_ne_u32_e64 s[0:1], 0, v9
	s_mov_b32 s15, 0x8000
	v_and_b32_sdwa v7, v7, s15 dst_sel:DWORD dst_unused:UNUSED_PAD src0_sel:WORD_1 src1_sel:DWORD
	v_cndmask_b32_e64 v9, 0, 1, s[0:1]
	v_lshl_or_b32 v9, v9, 9, v6
	v_cmp_eq_u32_e64 s[0:1], s14, v10
	v_lshl_add_u64 v[0:1], v[4:5], 2, v[0:1]
	s_movk_i32 s18, 0x1000
	v_cndmask_b32_e64 v12, v11, v9, s[0:1]
	v_cvt_f64_f32_e32 v[8:9], v2
	v_mul_f64 v[8:9], v[8:9], s[6:7]
	v_and_or_b32 v2, v9, s17, v8
	v_cmp_ne_u32_e64 s[0:1], 0, v2
	v_lshrrev_b32_e32 v8, 8, v9
	v_bfe_u32 v10, v9, 20, 11
	v_cndmask_b32_e64 v2, 0, 1, s[0:1]
	v_and_or_b32 v2, v8, s16, v2
	v_sub_u32_e32 v11, 0x3f1, v10
	v_or_b32_e32 v8, 0x1000, v2
	v_med3_i32 v11, v11, 0, 13
	v_lshrrev_b32_e32 v13, v11, v8
	v_lshlrev_b32_e32 v11, v11, v13
	v_cmp_ne_u32_e64 s[0:1], v11, v8
	v_add_u32_e32 v10, 0xfffffc10, v10
	v_lshl_or_b32 v11, v10, 12, v2
	v_cndmask_b32_e64 v8, 0, 1, s[0:1]
	v_or_b32_e32 v8, v13, v8
	v_cmp_gt_i32_e64 s[0:1], 1, v10
	s_nop 1
	v_cndmask_b32_e64 v8, v11, v8, s[0:1]
	v_and_b32_e32 v11, 7, v8
	v_cmp_lt_i32_e64 s[0:1], 5, v11
	v_cmp_eq_u32_e64 s[2:3], 3, v11
	v_lshrrev_b32_e32 v8, 2, v8
	s_or_b64 s[0:1], s[2:3], s[0:1]
	v_addc_co_u32_e64 v8, s[0:1], 0, v8, s[0:1]
	v_cmp_gt_i32_e64 s[0:1], 31, v10
	s_nop 1
	v_cndmask_b32_e64 v8, v6, v8, s[0:1]
	v_cmp_ne_u32_e64 s[0:1], 0, v2
	s_nop 1
	v_cndmask_b32_e64 v2, 0, 1, s[0:1]
	v_lshl_or_b32 v2, v2, 9, v6
	v_cmp_eq_u32_e64 s[0:1], s14, v10
	s_nop 1
	v_cndmask_b32_e64 v2, v8, v2, s[0:1]
	v_lshrrev_b32_e32 v8, 16, v9
	v_and_or_b32 v13, v8, s15, v2
	v_mad_u64_u32 v[8:9], s[0:1], s8, v18, 0
	v_mov_b32_e32 v2, v9
	v_mad_u64_u32 v[10:11], s[0:1], s9, v18, v[2:3]
	v_bitop3_b32 v2, v7, s4, v12 bitop3:0xc8
	v_lshrrev_b32_e32 v7, 16, v3
	v_mov_b32_e32 v9, v10
	v_mul_f16_sdwa v10, v119, v7 dst_sel:DWORD dst_unused:UNUSED_PAD src0_sel:WORD_1 src1_sel:DWORD
	v_fma_f16 v10, v119, v3, v10
	v_cvt_f32_f16_e32 v10, v10
	v_lshl_or_b32 v2, v13, 16, v2
	v_lshl_add_u64 v[8:9], v[8:9], 2, v[0:1]
	global_store_dword v[8:9], v2, off
	v_cvt_f64_f32_e32 v[4:5], v10
	v_mul_f64 v[4:5], v[4:5], s[6:7]
	v_and_or_b32 v2, v5, s17, v4
	v_cmp_ne_u32_e64 s[0:1], 0, v2
	v_lshrrev_b32_e32 v4, 8, v5
	v_bfe_u32 v10, v5, 20, 11
	v_cndmask_b32_e64 v2, 0, 1, s[0:1]
	v_and_or_b32 v2, v4, s16, v2
	v_sub_u32_e32 v11, 0x3f1, v10
	v_or_b32_e32 v4, 0x1000, v2
	v_med3_i32 v11, v11, 0, 13
	v_lshrrev_b32_e32 v12, v11, v4
	v_lshlrev_b32_e32 v11, v11, v12
	v_cmp_ne_u32_e64 s[0:1], v11, v4
	v_add_u32_e32 v10, 0xfffffc10, v10
	v_lshl_or_b32 v11, v10, 12, v2
	v_cndmask_b32_e64 v4, 0, 1, s[0:1]
	v_or_b32_e32 v4, v12, v4
	v_cmp_gt_i32_e64 s[0:1], 1, v10
	v_mul_f16_sdwa v3, v119, v3 dst_sel:DWORD dst_unused:UNUSED_PAD src0_sel:WORD_1 src1_sel:DWORD
	v_fma_f16 v3, v119, v7, -v3
	v_cndmask_b32_e64 v4, v11, v4, s[0:1]
	v_and_b32_e32 v11, 7, v4
	v_cmp_lt_i32_e64 s[0:1], 5, v11
	v_cmp_eq_u32_e64 s[2:3], 3, v11
	v_lshrrev_b32_e32 v4, 2, v4
	s_or_b64 s[0:1], s[2:3], s[0:1]
	v_addc_co_u32_e64 v4, s[0:1], 0, v4, s[0:1]
	v_cmp_gt_i32_e64 s[0:1], 31, v10
	v_cvt_f32_f16_e32 v3, v3
	v_and_b32_sdwa v7, v5, s15 dst_sel:DWORD dst_unused:UNUSED_PAD src0_sel:WORD_1 src1_sel:DWORD
	v_cndmask_b32_e64 v4, v6, v4, s[0:1]
	v_cmp_ne_u32_e64 s[0:1], 0, v2
	s_nop 1
	v_cndmask_b32_e64 v2, 0, 1, s[0:1]
	v_lshl_or_b32 v2, v2, 9, v6
	v_cmp_eq_u32_e64 s[0:1], s14, v10
	s_nop 1
	v_cndmask_b32_e64 v4, v4, v2, s[0:1]
	v_cvt_f64_f32_e32 v[2:3], v3
	v_mul_f64 v[2:3], v[2:3], s[6:7]
	v_and_or_b32 v2, v3, s17, v2
	v_cmp_ne_u32_e64 s[0:1], 0, v2
	v_lshrrev_b32_e32 v5, 8, v3
	v_bfe_u32 v10, v3, 20, 11
	v_cndmask_b32_e64 v2, 0, 1, s[0:1]
	v_and_or_b32 v2, v5, s16, v2
	v_sub_u32_e32 v11, 0x3f1, v10
	v_or_b32_e32 v5, 0x1000, v2
	v_med3_i32 v11, v11, 0, 13
	v_lshrrev_b32_e32 v12, v11, v5
	v_lshlrev_b32_e32 v11, v11, v12
	v_cmp_ne_u32_e64 s[0:1], v11, v5
	v_add_u32_e32 v10, 0xfffffc10, v10
	v_lshl_or_b32 v11, v10, 12, v2
	v_cndmask_b32_e64 v5, 0, 1, s[0:1]
	v_or_b32_e32 v5, v12, v5
	v_cmp_gt_i32_e64 s[0:1], 1, v10
	v_lshrrev_b32_e32 v3, 16, v3
	v_bitop3_b32 v4, v7, s4, v4 bitop3:0xc8
	v_cndmask_b32_e64 v5, v11, v5, s[0:1]
	v_and_b32_e32 v11, 7, v5
	v_cmp_lt_i32_e64 s[0:1], 5, v11
	v_cmp_eq_u32_e64 s[2:3], 3, v11
	v_lshrrev_b32_e32 v5, 2, v5
	s_or_b64 s[0:1], s[2:3], s[0:1]
	v_addc_co_u32_e64 v5, s[0:1], 0, v5, s[0:1]
	v_cmp_gt_i32_e64 s[0:1], 31, v10
	s_nop 1
	v_cndmask_b32_e64 v5, v6, v5, s[0:1]
	v_cmp_ne_u32_e64 s[0:1], 0, v2
	s_nop 1
	v_cndmask_b32_e64 v2, 0, 1, s[0:1]
	v_lshl_or_b32 v2, v2, 9, v6
	v_cmp_eq_u32_e64 s[0:1], s14, v10
	s_nop 1
	v_cndmask_b32_e64 v2, v5, v2, s[0:1]
	v_add_u32_e32 v5, 0x200, v16
	v_and_or_b32 v10, v3, s15, v2
	ds_read2_b32 v[2:3], v5 offset0:70 offset1:169
	v_lshl_or_b32 v4, v10, 16, v4
	s_mul_i32 s0, s9, 0x63
	s_mul_hi_u32 s1, s8, 0x63
	s_add_i32 s1, s1, s0
	s_waitcnt lgkmcnt(0)
	v_lshrrev_b32_e32 v7, 16, v2
	v_mul_f16_sdwa v10, v118, v7 dst_sel:DWORD dst_unused:UNUSED_PAD src0_sel:WORD_1 src1_sel:DWORD
	v_fma_f16 v10, v118, v2, v10
	v_cvt_f32_f16_e32 v10, v10
	s_mul_i32 s0, s8, 0x63
	s_lshl_b64 s[10:11], s[0:1], 2
	v_lshl_add_u64 v[8:9], v[8:9], 0, s[10:11]
	v_cvt_f64_f32_e32 v[10:11], v10
	v_mul_f64 v[10:11], v[10:11], s[6:7]
	global_store_dword v[8:9], v4, off
	v_and_or_b32 v4, v11, s17, v10
	v_cmp_ne_u32_e64 s[0:1], 0, v4
	v_lshrrev_b32_e32 v10, 8, v11
	v_bfe_u32 v12, v11, 20, 11
	v_cndmask_b32_e64 v4, 0, 1, s[0:1]
	v_and_or_b32 v4, v10, s16, v4
	v_sub_u32_e32 v13, 0x3f1, v12
	v_or_b32_e32 v10, 0x1000, v4
	v_med3_i32 v13, v13, 0, 13
	v_lshrrev_b32_e32 v14, v13, v10
	v_lshlrev_b32_e32 v13, v13, v14
	v_cmp_ne_u32_e64 s[0:1], v13, v10
	v_add_u32_e32 v12, 0xfffffc10, v12
	v_lshl_or_b32 v13, v12, 12, v4
	v_cndmask_b32_e64 v10, 0, 1, s[0:1]
	v_or_b32_e32 v10, v14, v10
	v_cmp_gt_i32_e64 s[0:1], 1, v12
	v_mul_f16_sdwa v2, v118, v2 dst_sel:DWORD dst_unused:UNUSED_PAD src0_sel:WORD_1 src1_sel:DWORD
	v_fma_f16 v2, v118, v7, -v2
	v_cndmask_b32_e64 v10, v13, v10, s[0:1]
	v_and_b32_e32 v13, 7, v10
	v_cmp_lt_i32_e64 s[0:1], 5, v13
	v_cmp_eq_u32_e64 s[2:3], 3, v13
	v_lshrrev_b32_e32 v10, 2, v10
	s_or_b64 s[0:1], s[2:3], s[0:1]
	v_addc_co_u32_e64 v10, s[0:1], 0, v10, s[0:1]
	v_cmp_gt_i32_e64 s[0:1], 31, v12
	v_cvt_f32_f16_e32 v2, v2
	v_and_b32_sdwa v7, v11, s15 dst_sel:DWORD dst_unused:UNUSED_PAD src0_sel:WORD_1 src1_sel:DWORD
	v_cndmask_b32_e64 v10, v6, v10, s[0:1]
	v_cmp_ne_u32_e64 s[0:1], 0, v4
	v_lshl_add_u64 v[8:9], v[8:9], 0, s[10:11]
	s_nop 0
	v_cndmask_b32_e64 v4, 0, 1, s[0:1]
	v_lshl_or_b32 v4, v4, 9, v6
	v_cmp_eq_u32_e64 s[0:1], s14, v12
	s_nop 1
	v_cndmask_b32_e64 v4, v10, v4, s[0:1]
	v_cvt_f64_f32_e32 v[10:11], v2
	v_mul_f64 v[10:11], v[10:11], s[6:7]
	v_and_or_b32 v2, v11, s17, v10
	v_cmp_ne_u32_e64 s[0:1], 0, v2
	v_lshrrev_b32_e32 v10, 8, v11
	v_bfe_u32 v12, v11, 20, 11
	v_cndmask_b32_e64 v2, 0, 1, s[0:1]
	v_and_or_b32 v2, v10, s16, v2
	v_sub_u32_e32 v13, 0x3f1, v12
	v_or_b32_e32 v10, 0x1000, v2
	v_med3_i32 v13, v13, 0, 13
	v_lshrrev_b32_e32 v14, v13, v10
	v_lshlrev_b32_e32 v13, v13, v14
	v_cmp_ne_u32_e64 s[0:1], v13, v10
	v_add_u32_e32 v12, 0xfffffc10, v12
	v_lshl_or_b32 v13, v12, 12, v2
	v_cndmask_b32_e64 v10, 0, 1, s[0:1]
	v_or_b32_e32 v10, v14, v10
	v_cmp_gt_i32_e64 s[0:1], 1, v12
	v_bitop3_b32 v4, v7, s4, v4 bitop3:0xc8
	v_lshrrev_b32_e32 v7, 16, v3
	v_cndmask_b32_e64 v10, v13, v10, s[0:1]
	v_and_b32_e32 v13, 7, v10
	v_cmp_lt_i32_e64 s[0:1], 5, v13
	v_cmp_eq_u32_e64 s[2:3], 3, v13
	v_lshrrev_b32_e32 v10, 2, v10
	s_or_b64 s[0:1], s[2:3], s[0:1]
	v_addc_co_u32_e64 v10, s[0:1], 0, v10, s[0:1]
	v_cmp_gt_i32_e64 s[0:1], 31, v12
	s_nop 1
	v_cndmask_b32_e64 v10, v6, v10, s[0:1]
	v_cmp_ne_u32_e64 s[0:1], 0, v2
	s_nop 1
	v_cndmask_b32_e64 v2, 0, 1, s[0:1]
	v_lshl_or_b32 v2, v2, 9, v6
	v_cmp_eq_u32_e64 s[0:1], s14, v12
	s_nop 1
	v_cndmask_b32_e64 v2, v10, v2, s[0:1]
	v_lshrrev_b32_e32 v10, 16, v11
	v_and_or_b32 v2, v10, s15, v2
	v_mul_f16_sdwa v10, v117, v7 dst_sel:DWORD dst_unused:UNUSED_PAD src0_sel:WORD_1 src1_sel:DWORD
	v_fma_f16 v10, v117, v3, v10
	v_cvt_f32_f16_e32 v10, v10
	v_lshl_or_b32 v2, v2, 16, v4
	global_store_dword v[8:9], v2, off
	v_mul_f16_sdwa v3, v117, v3 dst_sel:DWORD dst_unused:UNUSED_PAD src0_sel:WORD_1 src1_sel:DWORD
	v_cvt_f64_f32_e32 v[10:11], v10
	v_mul_f64 v[10:11], v[10:11], s[6:7]
	v_and_or_b32 v2, v11, s17, v10
	v_cmp_ne_u32_e64 s[0:1], 0, v2
	v_lshrrev_b32_e32 v4, 8, v11
	v_bfe_u32 v10, v11, 20, 11
	v_cndmask_b32_e64 v2, 0, 1, s[0:1]
	v_and_or_b32 v2, v4, s16, v2
	v_sub_u32_e32 v12, 0x3f1, v10
	v_or_b32_e32 v4, 0x1000, v2
	v_med3_i32 v12, v12, 0, 13
	v_lshrrev_b32_e32 v13, v12, v4
	v_lshlrev_b32_e32 v12, v12, v13
	v_cmp_ne_u32_e64 s[0:1], v12, v4
	v_add_u32_e32 v10, 0xfffffc10, v10
	v_lshl_or_b32 v12, v10, 12, v2
	v_cndmask_b32_e64 v4, 0, 1, s[0:1]
	v_or_b32_e32 v4, v13, v4
	v_cmp_gt_i32_e64 s[0:1], 1, v10
	v_fma_f16 v3, v117, v7, -v3
	v_cvt_f32_f16_e32 v3, v3
	v_cndmask_b32_e64 v4, v12, v4, s[0:1]
	v_and_b32_e32 v12, 7, v4
	v_cmp_lt_i32_e64 s[0:1], 5, v12
	v_cmp_eq_u32_e64 s[2:3], 3, v12
	v_lshrrev_b32_e32 v4, 2, v4
	s_or_b64 s[0:1], s[2:3], s[0:1]
	v_addc_co_u32_e64 v4, s[0:1], 0, v4, s[0:1]
	v_cmp_gt_i32_e64 s[0:1], 31, v10
	v_and_b32_sdwa v7, v11, s15 dst_sel:DWORD dst_unused:UNUSED_PAD src0_sel:WORD_1 src1_sel:DWORD
	s_nop 0
	v_cndmask_b32_e64 v4, v6, v4, s[0:1]
	v_cmp_ne_u32_e64 s[0:1], 0, v2
	s_nop 1
	v_cndmask_b32_e64 v2, 0, 1, s[0:1]
	v_lshl_or_b32 v2, v2, 9, v6
	v_cmp_eq_u32_e64 s[0:1], s14, v10
	s_nop 1
	v_cndmask_b32_e64 v4, v4, v2, s[0:1]
	v_cvt_f64_f32_e32 v[2:3], v3
	v_mul_f64 v[2:3], v[2:3], s[6:7]
	v_and_or_b32 v2, v3, s17, v2
	v_cmp_ne_u32_e64 s[0:1], 0, v2
	v_lshrrev_b32_e32 v10, 8, v3
	v_bfe_u32 v11, v3, 20, 11
	v_cndmask_b32_e64 v2, 0, 1, s[0:1]
	v_and_or_b32 v2, v10, s16, v2
	v_sub_u32_e32 v12, 0x3f1, v11
	v_or_b32_e32 v10, 0x1000, v2
	v_med3_i32 v12, v12, 0, 13
	v_lshrrev_b32_e32 v13, v12, v10
	v_lshlrev_b32_e32 v12, v12, v13
	v_cmp_ne_u32_e64 s[0:1], v12, v10
	v_add_u32_e32 v12, 0xfffffc10, v11
	v_lshl_or_b32 v11, v12, 12, v2
	v_cndmask_b32_e64 v10, 0, 1, s[0:1]
	v_or_b32_e32 v10, v13, v10
	v_cmp_gt_i32_e64 s[0:1], 1, v12
	v_lshrrev_b32_e32 v3, 16, v3
	s_nop 0
	v_cndmask_b32_e64 v10, v11, v10, s[0:1]
	v_and_b32_e32 v11, 7, v10
	v_cmp_lt_i32_e64 s[0:1], 5, v11
	v_cmp_eq_u32_e64 s[2:3], 3, v11
	v_lshrrev_b32_e32 v10, 2, v10
	s_or_b64 s[0:1], s[2:3], s[0:1]
	v_addc_co_u32_e64 v10, s[0:1], 0, v10, s[0:1]
	v_cmp_gt_i32_e64 s[0:1], 31, v12
	s_nop 1
	v_cndmask_b32_e64 v13, v6, v10, s[0:1]
	ds_read2_b32 v[10:11], v80 offset0:140 offset1:239
	v_cmp_ne_u32_e64 s[0:1], 0, v2
	s_nop 1
	v_cndmask_b32_e64 v2, 0, 1, s[0:1]
	v_lshl_or_b32 v2, v2, 9, v6
	v_cmp_eq_u32_e64 s[0:1], s14, v12
	s_nop 1
	v_cndmask_b32_e64 v2, v13, v2, s[0:1]
	v_and_or_b32 v2, v3, s15, v2
	v_bitop3_b32 v3, v7, s4, v4 bitop3:0xc8
	s_waitcnt lgkmcnt(0)
	v_lshrrev_b32_e32 v4, 16, v10
	v_mul_f16_sdwa v7, v116, v4 dst_sel:DWORD dst_unused:UNUSED_PAD src0_sel:WORD_1 src1_sel:DWORD
	v_fma_f16 v7, v116, v10, v7
	v_cvt_f32_f16_e32 v7, v7
	v_lshl_or_b32 v12, v2, 16, v3
	v_lshl_add_u64 v[2:3], v[8:9], 0, s[10:11]
	global_store_dword v[2:3], v12, off
	v_cvt_f64_f32_e32 v[8:9], v7
	v_mul_f64 v[8:9], v[8:9], s[6:7]
	v_and_or_b32 v7, v9, s17, v8
	v_cmp_ne_u32_e64 s[0:1], 0, v7
	v_lshrrev_b32_e32 v8, 8, v9
	v_bfe_u32 v12, v9, 20, 11
	v_cndmask_b32_e64 v7, 0, 1, s[0:1]
	v_and_or_b32 v7, v8, s16, v7
	v_sub_u32_e32 v13, 0x3f1, v12
	v_or_b32_e32 v8, 0x1000, v7
	v_med3_i32 v13, v13, 0, 13
	v_lshrrev_b32_e32 v14, v13, v8
	v_lshlrev_b32_e32 v13, v13, v14
	v_cmp_ne_u32_e64 s[0:1], v13, v8
	v_add_u32_e32 v12, 0xfffffc10, v12
	v_lshl_or_b32 v13, v12, 12, v7
	v_cndmask_b32_e64 v8, 0, 1, s[0:1]
	v_or_b32_e32 v8, v14, v8
	v_cmp_gt_i32_e64 s[0:1], 1, v12
	v_mul_f16_sdwa v10, v116, v10 dst_sel:DWORD dst_unused:UNUSED_PAD src0_sel:WORD_1 src1_sel:DWORD
	v_fma_f16 v4, v116, v4, -v10
	v_cndmask_b32_e64 v8, v13, v8, s[0:1]
	v_and_b32_e32 v13, 7, v8
	v_cmp_lt_i32_e64 s[0:1], 5, v13
	v_cmp_eq_u32_e64 s[2:3], 3, v13
	v_lshrrev_b32_e32 v8, 2, v8
	s_or_b64 s[0:1], s[2:3], s[0:1]
	v_addc_co_u32_e64 v8, s[0:1], 0, v8, s[0:1]
	v_cmp_gt_i32_e64 s[0:1], 31, v12
	v_cvt_f32_f16_e32 v4, v4
	v_and_b32_sdwa v10, v9, s15 dst_sel:DWORD dst_unused:UNUSED_PAD src0_sel:WORD_1 src1_sel:DWORD
	v_cndmask_b32_e64 v8, v6, v8, s[0:1]
	v_cmp_ne_u32_e64 s[0:1], 0, v7
	v_lshl_add_u64 v[2:3], v[2:3], 0, s[10:11]
	s_nop 0
	v_cndmask_b32_e64 v7, 0, 1, s[0:1]
	v_lshl_or_b32 v7, v7, 9, v6
	v_cmp_eq_u32_e64 s[0:1], s14, v12
	s_nop 1
	v_cndmask_b32_e64 v7, v8, v7, s[0:1]
	v_cvt_f64_f32_e32 v[8:9], v4
	v_mul_f64 v[8:9], v[8:9], s[6:7]
	v_and_or_b32 v4, v9, s17, v8
	v_cmp_ne_u32_e64 s[0:1], 0, v4
	v_lshrrev_b32_e32 v8, 8, v9
	v_bfe_u32 v12, v9, 20, 11
	v_cndmask_b32_e64 v4, 0, 1, s[0:1]
	v_and_or_b32 v4, v8, s16, v4
	v_sub_u32_e32 v13, 0x3f1, v12
	v_or_b32_e32 v8, 0x1000, v4
	v_med3_i32 v13, v13, 0, 13
	v_lshrrev_b32_e32 v14, v13, v8
	v_lshlrev_b32_e32 v13, v13, v14
	v_cmp_ne_u32_e64 s[0:1], v13, v8
	v_add_u32_e32 v12, 0xfffffc10, v12
	v_lshl_or_b32 v13, v12, 12, v4
	v_cndmask_b32_e64 v8, 0, 1, s[0:1]
	v_or_b32_e32 v8, v14, v8
	v_cmp_gt_i32_e64 s[0:1], 1, v12
	v_bitop3_b32 v7, v10, s4, v7 bitop3:0xc8
	v_lshrrev_b32_e32 v10, 16, v11
	v_cndmask_b32_e64 v8, v13, v8, s[0:1]
	v_and_b32_e32 v13, 7, v8
	v_cmp_lt_i32_e64 s[0:1], 5, v13
	v_cmp_eq_u32_e64 s[2:3], 3, v13
	v_lshrrev_b32_e32 v8, 2, v8
	s_or_b64 s[0:1], s[2:3], s[0:1]
	v_addc_co_u32_e64 v8, s[0:1], 0, v8, s[0:1]
	v_cmp_gt_i32_e64 s[0:1], 31, v12
	s_nop 1
	v_cndmask_b32_e64 v8, v6, v8, s[0:1]
	v_cmp_ne_u32_e64 s[0:1], 0, v4
	s_nop 1
	v_cndmask_b32_e64 v4, 0, 1, s[0:1]
	v_lshl_or_b32 v4, v4, 9, v6
	v_cmp_eq_u32_e64 s[0:1], s14, v12
	s_nop 1
	v_cndmask_b32_e64 v4, v8, v4, s[0:1]
	v_lshrrev_b32_e32 v8, 16, v9
	v_and_or_b32 v4, v8, s15, v4
	v_mul_f16_sdwa v8, v115, v10 dst_sel:DWORD dst_unused:UNUSED_PAD src0_sel:WORD_1 src1_sel:DWORD
	v_fma_f16 v8, v115, v11, v8
	v_cvt_f32_f16_e32 v8, v8
	v_lshl_or_b32 v4, v4, 16, v7
	global_store_dword v[2:3], v4, off
	v_mul_f16_sdwa v11, v115, v11 dst_sel:DWORD dst_unused:UNUSED_PAD src0_sel:WORD_1 src1_sel:DWORD
	v_cvt_f64_f32_e32 v[8:9], v8
	v_mul_f64 v[8:9], v[8:9], s[6:7]
	v_and_or_b32 v4, v9, s17, v8
	v_cmp_ne_u32_e64 s[0:1], 0, v4
	v_lshrrev_b32_e32 v7, 8, v9
	v_bfe_u32 v8, v9, 20, 11
	v_cndmask_b32_e64 v4, 0, 1, s[0:1]
	v_and_or_b32 v4, v7, s16, v4
	v_sub_u32_e32 v12, 0x3f1, v8
	v_or_b32_e32 v7, 0x1000, v4
	v_med3_i32 v12, v12, 0, 13
	v_lshrrev_b32_e32 v13, v12, v7
	v_lshlrev_b32_e32 v12, v12, v13
	v_cmp_ne_u32_e64 s[0:1], v12, v7
	v_add_u32_e32 v8, 0xfffffc10, v8
	v_lshl_or_b32 v12, v8, 12, v4
	v_cndmask_b32_e64 v7, 0, 1, s[0:1]
	v_or_b32_e32 v7, v13, v7
	v_cmp_gt_i32_e64 s[0:1], 1, v8
	v_fma_f16 v10, v115, v10, -v11
	v_cvt_f32_f16_e32 v10, v10
	v_cndmask_b32_e64 v7, v12, v7, s[0:1]
	v_and_b32_e32 v12, 7, v7
	v_cmp_lt_i32_e64 s[0:1], 5, v12
	v_cmp_eq_u32_e64 s[2:3], 3, v12
	v_lshrrev_b32_e32 v7, 2, v7
	s_or_b64 s[0:1], s[2:3], s[0:1]
	v_addc_co_u32_e64 v7, s[0:1], 0, v7, s[0:1]
	v_cmp_gt_i32_e64 s[0:1], 31, v8
	v_lshl_add_u64 v[2:3], v[2:3], 0, s[10:11]
	s_nop 0
	v_cndmask_b32_e64 v7, v6, v7, s[0:1]
	v_cmp_ne_u32_e64 s[0:1], 0, v4
	s_nop 1
	v_cndmask_b32_e64 v4, 0, 1, s[0:1]
	v_lshl_or_b32 v4, v4, 9, v6
	v_cmp_eq_u32_e64 s[0:1], s14, v8
	s_nop 1
	v_cndmask_b32_e64 v4, v7, v4, s[0:1]
	v_and_b32_sdwa v7, v9, s15 dst_sel:DWORD dst_unused:UNUSED_PAD src0_sel:WORD_1 src1_sel:DWORD
	v_cvt_f64_f32_e32 v[8:9], v10
	v_mul_f64 v[8:9], v[8:9], s[6:7]
	v_and_or_b32 v8, v9, s17, v8
	v_cmp_ne_u32_e64 s[0:1], 0, v8
	v_lshrrev_b32_e32 v10, 8, v9
	v_bfe_u32 v11, v9, 20, 11
	v_cndmask_b32_e64 v8, 0, 1, s[0:1]
	v_and_or_b32 v8, v10, s16, v8
	v_sub_u32_e32 v12, 0x3f1, v11
	v_or_b32_e32 v10, 0x1000, v8
	v_med3_i32 v12, v12, 0, 13
	v_lshrrev_b32_e32 v13, v12, v10
	v_lshlrev_b32_e32 v12, v12, v13
	v_cmp_ne_u32_e64 s[0:1], v12, v10
	v_add_u32_e32 v12, 0xfffffc10, v11
	v_lshl_or_b32 v11, v12, 12, v8
	v_cndmask_b32_e64 v10, 0, 1, s[0:1]
	v_or_b32_e32 v10, v13, v10
	v_cmp_gt_i32_e64 s[0:1], 1, v12
	v_lshrrev_b32_e32 v9, 16, v9
	v_bitop3_b32 v4, v7, s4, v4 bitop3:0xc8
	v_cndmask_b32_e64 v10, v11, v10, s[0:1]
	v_and_b32_e32 v11, 7, v10
	v_cmp_lt_i32_e64 s[0:1], 5, v11
	v_cmp_eq_u32_e64 s[2:3], 3, v11
	v_lshrrev_b32_e32 v10, 2, v10
	s_or_b64 s[0:1], s[2:3], s[0:1]
	v_addc_co_u32_e64 v10, s[0:1], 0, v10, s[0:1]
	v_cmp_gt_i32_e64 s[0:1], 31, v12
	s_nop 1
	v_cndmask_b32_e64 v13, v6, v10, s[0:1]
	ds_read2_b32 v[10:11], v76 offset0:82 offset1:181
	v_cmp_ne_u32_e64 s[0:1], 0, v8
	s_waitcnt lgkmcnt(0)
	v_lshrrev_b32_e32 v7, 16, v10
	v_cndmask_b32_e64 v8, 0, 1, s[0:1]
	v_lshl_or_b32 v8, v8, 9, v6
	v_cmp_eq_u32_e64 s[0:1], s14, v12
	s_nop 1
	v_cndmask_b32_e64 v8, v13, v8, s[0:1]
	v_and_or_b32 v8, v9, s15, v8
	v_mul_f16_sdwa v9, v114, v7 dst_sel:DWORD dst_unused:UNUSED_PAD src0_sel:WORD_1 src1_sel:DWORD
	v_fma_f16 v9, v114, v10, v9
	v_cvt_f32_f16_e32 v9, v9
	v_lshl_or_b32 v4, v8, 16, v4
	global_store_dword v[2:3], v4, off
	v_mul_f16_sdwa v10, v114, v10 dst_sel:DWORD dst_unused:UNUSED_PAD src0_sel:WORD_1 src1_sel:DWORD
	v_cvt_f64_f32_e32 v[8:9], v9
	v_mul_f64 v[8:9], v[8:9], s[6:7]
	v_and_or_b32 v4, v9, s17, v8
	v_cmp_ne_u32_e64 s[0:1], 0, v4
	v_lshrrev_b32_e32 v8, 8, v9
	v_bfe_u32 v12, v9, 20, 11
	v_cndmask_b32_e64 v4, 0, 1, s[0:1]
	v_and_or_b32 v4, v8, s16, v4
	v_sub_u32_e32 v13, 0x3f1, v12
	v_or_b32_e32 v8, 0x1000, v4
	v_med3_i32 v13, v13, 0, 13
	v_lshrrev_b32_e32 v14, v13, v8
	v_lshlrev_b32_e32 v13, v13, v14
	v_cmp_ne_u32_e64 s[0:1], v13, v8
	v_add_u32_e32 v12, 0xfffffc10, v12
	v_lshl_or_b32 v13, v12, 12, v4
	v_cndmask_b32_e64 v8, 0, 1, s[0:1]
	v_or_b32_e32 v8, v14, v8
	v_cmp_gt_i32_e64 s[0:1], 1, v12
	v_fma_f16 v7, v114, v7, -v10
	v_cvt_f32_f16_e32 v7, v7
	v_cndmask_b32_e64 v8, v13, v8, s[0:1]
	v_and_b32_e32 v13, 7, v8
	v_cmp_lt_i32_e64 s[0:1], 5, v13
	v_cmp_eq_u32_e64 s[2:3], 3, v13
	v_lshrrev_b32_e32 v8, 2, v8
	s_or_b64 s[0:1], s[2:3], s[0:1]
	v_addc_co_u32_e64 v8, s[0:1], 0, v8, s[0:1]
	v_cmp_gt_i32_e64 s[0:1], 31, v12
	v_and_b32_sdwa v10, v9, s15 dst_sel:DWORD dst_unused:UNUSED_PAD src0_sel:WORD_1 src1_sel:DWORD
	v_lshl_add_u64 v[2:3], v[2:3], 0, s[10:11]
	v_cndmask_b32_e64 v8, v6, v8, s[0:1]
	v_cmp_ne_u32_e64 s[0:1], 0, v4
	s_nop 1
	v_cndmask_b32_e64 v4, 0, 1, s[0:1]
	v_lshl_or_b32 v4, v4, 9, v6
	v_cmp_eq_u32_e64 s[0:1], s14, v12
	s_nop 1
	v_cndmask_b32_e64 v4, v8, v4, s[0:1]
	v_cvt_f64_f32_e32 v[8:9], v7
	v_mul_f64 v[8:9], v[8:9], s[6:7]
	v_and_or_b32 v7, v9, s17, v8
	v_cmp_ne_u32_e64 s[0:1], 0, v7
	v_lshrrev_b32_e32 v8, 8, v9
	v_bfe_u32 v12, v9, 20, 11
	v_cndmask_b32_e64 v7, 0, 1, s[0:1]
	v_and_or_b32 v7, v8, s16, v7
	v_sub_u32_e32 v13, 0x3f1, v12
	v_or_b32_e32 v8, 0x1000, v7
	v_med3_i32 v13, v13, 0, 13
	v_lshrrev_b32_e32 v14, v13, v8
	v_lshlrev_b32_e32 v13, v13, v14
	v_cmp_ne_u32_e64 s[0:1], v13, v8
	v_add_u32_e32 v12, 0xfffffc10, v12
	v_lshl_or_b32 v13, v12, 12, v7
	v_cndmask_b32_e64 v8, 0, 1, s[0:1]
	v_or_b32_e32 v8, v14, v8
	v_cmp_gt_i32_e64 s[0:1], 1, v12
	v_bitop3_b32 v4, v10, s4, v4 bitop3:0xc8
	v_lshrrev_b32_e32 v10, 16, v11
	v_cndmask_b32_e64 v8, v13, v8, s[0:1]
	v_and_b32_e32 v13, 7, v8
	v_cmp_lt_i32_e64 s[0:1], 5, v13
	v_cmp_eq_u32_e64 s[2:3], 3, v13
	v_lshrrev_b32_e32 v8, 2, v8
	s_or_b64 s[0:1], s[2:3], s[0:1]
	v_addc_co_u32_e64 v8, s[0:1], 0, v8, s[0:1]
	v_cmp_gt_i32_e64 s[0:1], 31, v12
	s_nop 1
	v_cndmask_b32_e64 v8, v6, v8, s[0:1]
	v_cmp_ne_u32_e64 s[0:1], 0, v7
	s_nop 1
	v_cndmask_b32_e64 v7, 0, 1, s[0:1]
	v_lshl_or_b32 v7, v7, 9, v6
	v_cmp_eq_u32_e64 s[0:1], s14, v12
	s_nop 1
	v_cndmask_b32_e64 v7, v8, v7, s[0:1]
	v_lshrrev_b32_e32 v8, 16, v9
	v_and_or_b32 v7, v8, s15, v7
	v_mul_f16_sdwa v8, v113, v10 dst_sel:DWORD dst_unused:UNUSED_PAD src0_sel:WORD_1 src1_sel:DWORD
	v_fma_f16 v8, v113, v11, v8
	v_cvt_f32_f16_e32 v8, v8
	v_lshl_or_b32 v4, v7, 16, v4
	global_store_dword v[2:3], v4, off
	v_mul_f16_sdwa v11, v113, v11 dst_sel:DWORD dst_unused:UNUSED_PAD src0_sel:WORD_1 src1_sel:DWORD
	v_cvt_f64_f32_e32 v[8:9], v8
	v_mul_f64 v[8:9], v[8:9], s[6:7]
	v_and_or_b32 v4, v9, s17, v8
	v_cmp_ne_u32_e64 s[0:1], 0, v4
	v_lshrrev_b32_e32 v7, 8, v9
	v_bfe_u32 v8, v9, 20, 11
	v_cndmask_b32_e64 v4, 0, 1, s[0:1]
	v_and_or_b32 v4, v7, s16, v4
	v_sub_u32_e32 v12, 0x3f1, v8
	v_or_b32_e32 v7, 0x1000, v4
	v_med3_i32 v12, v12, 0, 13
	v_lshrrev_b32_e32 v13, v12, v7
	v_lshlrev_b32_e32 v12, v12, v13
	v_cmp_ne_u32_e64 s[0:1], v12, v7
	v_add_u32_e32 v8, 0xfffffc10, v8
	v_lshl_or_b32 v12, v8, 12, v4
	v_cndmask_b32_e64 v7, 0, 1, s[0:1]
	v_or_b32_e32 v7, v13, v7
	v_cmp_gt_i32_e64 s[0:1], 1, v8
	v_fma_f16 v10, v113, v10, -v11
	v_cvt_f32_f16_e32 v10, v10
	v_cndmask_b32_e64 v7, v12, v7, s[0:1]
	v_and_b32_e32 v12, 7, v7
	v_cmp_lt_i32_e64 s[0:1], 5, v12
	v_cmp_eq_u32_e64 s[2:3], 3, v12
	v_lshrrev_b32_e32 v7, 2, v7
	s_or_b64 s[0:1], s[2:3], s[0:1]
	v_addc_co_u32_e64 v7, s[0:1], 0, v7, s[0:1]
	v_cmp_gt_i32_e64 s[0:1], 31, v8
	v_lshl_add_u64 v[2:3], v[2:3], 0, s[10:11]
	s_nop 0
	v_cndmask_b32_e64 v7, v6, v7, s[0:1]
	v_cmp_ne_u32_e64 s[0:1], 0, v4
	s_nop 1
	v_cndmask_b32_e64 v4, 0, 1, s[0:1]
	v_lshl_or_b32 v4, v4, 9, v6
	v_cmp_eq_u32_e64 s[0:1], s14, v8
	s_nop 1
	v_cndmask_b32_e64 v4, v7, v4, s[0:1]
	v_and_b32_sdwa v7, v9, s15 dst_sel:DWORD dst_unused:UNUSED_PAD src0_sel:WORD_1 src1_sel:DWORD
	v_cvt_f64_f32_e32 v[8:9], v10
	v_mul_f64 v[8:9], v[8:9], s[6:7]
	v_and_or_b32 v8, v9, s17, v8
	v_cmp_ne_u32_e64 s[0:1], 0, v8
	v_lshrrev_b32_e32 v10, 8, v9
	v_bfe_u32 v11, v9, 20, 11
	v_cndmask_b32_e64 v8, 0, 1, s[0:1]
	v_and_or_b32 v8, v10, s16, v8
	v_sub_u32_e32 v12, 0x3f1, v11
	v_or_b32_e32 v10, 0x1000, v8
	v_med3_i32 v12, v12, 0, 13
	v_lshrrev_b32_e32 v13, v12, v10
	v_lshlrev_b32_e32 v12, v12, v13
	v_cmp_ne_u32_e64 s[0:1], v12, v10
	v_add_u32_e32 v12, 0xfffffc10, v11
	v_lshl_or_b32 v11, v12, 12, v8
	v_cndmask_b32_e64 v10, 0, 1, s[0:1]
	v_or_b32_e32 v10, v13, v10
	v_cmp_gt_i32_e64 s[0:1], 1, v12
	v_lshrrev_b32_e32 v9, 16, v9
	v_bitop3_b32 v4, v7, s4, v4 bitop3:0xc8
	v_cndmask_b32_e64 v10, v11, v10, s[0:1]
	v_and_b32_e32 v11, 7, v10
	v_cmp_lt_i32_e64 s[0:1], 5, v11
	v_cmp_eq_u32_e64 s[2:3], 3, v11
	v_lshrrev_b32_e32 v10, 2, v10
	s_or_b64 s[0:1], s[2:3], s[0:1]
	v_addc_co_u32_e64 v10, s[0:1], 0, v10, s[0:1]
	v_cmp_gt_i32_e64 s[0:1], 31, v12
	s_nop 1
	v_cndmask_b32_e64 v13, v6, v10, s[0:1]
	ds_read2_b32 v[10:11], v75 offset0:24 offset1:123
	v_cmp_ne_u32_e64 s[0:1], 0, v8
	s_waitcnt lgkmcnt(0)
	v_lshrrev_b32_e32 v7, 16, v10
	v_cndmask_b32_e64 v8, 0, 1, s[0:1]
	v_lshl_or_b32 v8, v8, 9, v6
	v_cmp_eq_u32_e64 s[0:1], s14, v12
	s_nop 1
	v_cndmask_b32_e64 v8, v13, v8, s[0:1]
	v_and_or_b32 v8, v9, s15, v8
	v_mul_f16_sdwa v9, v112, v7 dst_sel:DWORD dst_unused:UNUSED_PAD src0_sel:WORD_1 src1_sel:DWORD
	v_fma_f16 v9, v112, v10, v9
	v_cvt_f32_f16_e32 v9, v9
	v_lshl_or_b32 v4, v8, 16, v4
	global_store_dword v[2:3], v4, off
	v_mul_f16_sdwa v10, v112, v10 dst_sel:DWORD dst_unused:UNUSED_PAD src0_sel:WORD_1 src1_sel:DWORD
	v_cvt_f64_f32_e32 v[8:9], v9
	v_mul_f64 v[8:9], v[8:9], s[6:7]
	v_and_or_b32 v4, v9, s17, v8
	v_cmp_ne_u32_e64 s[0:1], 0, v4
	v_lshrrev_b32_e32 v8, 8, v9
	v_bfe_u32 v12, v9, 20, 11
	v_cndmask_b32_e64 v4, 0, 1, s[0:1]
	v_and_or_b32 v4, v8, s16, v4
	v_sub_u32_e32 v13, 0x3f1, v12
	v_or_b32_e32 v8, 0x1000, v4
	v_med3_i32 v13, v13, 0, 13
	v_lshrrev_b32_e32 v14, v13, v8
	v_lshlrev_b32_e32 v13, v13, v14
	v_cmp_ne_u32_e64 s[0:1], v13, v8
	v_add_u32_e32 v12, 0xfffffc10, v12
	v_lshl_or_b32 v13, v12, 12, v4
	v_cndmask_b32_e64 v8, 0, 1, s[0:1]
	v_or_b32_e32 v8, v14, v8
	v_cmp_gt_i32_e64 s[0:1], 1, v12
	v_fma_f16 v7, v112, v7, -v10
	v_cvt_f32_f16_e32 v7, v7
	v_cndmask_b32_e64 v8, v13, v8, s[0:1]
	v_and_b32_e32 v13, 7, v8
	v_cmp_lt_i32_e64 s[0:1], 5, v13
	v_cmp_eq_u32_e64 s[2:3], 3, v13
	v_lshrrev_b32_e32 v8, 2, v8
	s_or_b64 s[0:1], s[2:3], s[0:1]
	v_addc_co_u32_e64 v8, s[0:1], 0, v8, s[0:1]
	v_cmp_gt_i32_e64 s[0:1], 31, v12
	v_and_b32_sdwa v10, v9, s15 dst_sel:DWORD dst_unused:UNUSED_PAD src0_sel:WORD_1 src1_sel:DWORD
	v_lshl_add_u64 v[2:3], v[2:3], 0, s[10:11]
	v_cndmask_b32_e64 v8, v6, v8, s[0:1]
	v_cmp_ne_u32_e64 s[0:1], 0, v4
	s_nop 1
	v_cndmask_b32_e64 v4, 0, 1, s[0:1]
	v_lshl_or_b32 v4, v4, 9, v6
	v_cmp_eq_u32_e64 s[0:1], s14, v12
	s_nop 1
	v_cndmask_b32_e64 v4, v8, v4, s[0:1]
	v_cvt_f64_f32_e32 v[8:9], v7
	v_mul_f64 v[8:9], v[8:9], s[6:7]
	v_and_or_b32 v7, v9, s17, v8
	v_cmp_ne_u32_e64 s[0:1], 0, v7
	v_lshrrev_b32_e32 v8, 8, v9
	v_bfe_u32 v12, v9, 20, 11
	v_cndmask_b32_e64 v7, 0, 1, s[0:1]
	v_and_or_b32 v7, v8, s16, v7
	v_sub_u32_e32 v13, 0x3f1, v12
	v_or_b32_e32 v8, 0x1000, v7
	v_med3_i32 v13, v13, 0, 13
	v_lshrrev_b32_e32 v14, v13, v8
	v_lshlrev_b32_e32 v13, v13, v14
	v_cmp_ne_u32_e64 s[0:1], v13, v8
	v_add_u32_e32 v12, 0xfffffc10, v12
	v_lshl_or_b32 v13, v12, 12, v7
	v_cndmask_b32_e64 v8, 0, 1, s[0:1]
	v_or_b32_e32 v8, v14, v8
	v_cmp_gt_i32_e64 s[0:1], 1, v12
	v_bitop3_b32 v4, v10, s4, v4 bitop3:0xc8
	v_lshrrev_b32_e32 v10, 16, v11
	v_cndmask_b32_e64 v8, v13, v8, s[0:1]
	v_and_b32_e32 v13, 7, v8
	v_cmp_lt_i32_e64 s[0:1], 5, v13
	v_cmp_eq_u32_e64 s[2:3], 3, v13
	v_lshrrev_b32_e32 v8, 2, v8
	s_or_b64 s[0:1], s[2:3], s[0:1]
	v_addc_co_u32_e64 v8, s[0:1], 0, v8, s[0:1]
	v_cmp_gt_i32_e64 s[0:1], 31, v12
	s_nop 1
	v_cndmask_b32_e64 v8, v6, v8, s[0:1]
	v_cmp_ne_u32_e64 s[0:1], 0, v7
	s_nop 1
	v_cndmask_b32_e64 v7, 0, 1, s[0:1]
	v_lshl_or_b32 v7, v7, 9, v6
	v_cmp_eq_u32_e64 s[0:1], s14, v12
	s_nop 1
	v_cndmask_b32_e64 v7, v8, v7, s[0:1]
	v_lshrrev_b32_e32 v8, 16, v9
	v_and_or_b32 v7, v8, s15, v7
	v_mul_f16_sdwa v8, v111, v10 dst_sel:DWORD dst_unused:UNUSED_PAD src0_sel:WORD_1 src1_sel:DWORD
	v_fma_f16 v8, v111, v11, v8
	v_cvt_f32_f16_e32 v8, v8
	v_lshl_or_b32 v4, v7, 16, v4
	global_store_dword v[2:3], v4, off
	v_mul_f16_sdwa v11, v111, v11 dst_sel:DWORD dst_unused:UNUSED_PAD src0_sel:WORD_1 src1_sel:DWORD
	v_cvt_f64_f32_e32 v[8:9], v8
	v_mul_f64 v[8:9], v[8:9], s[6:7]
	v_and_or_b32 v4, v9, s17, v8
	v_cmp_ne_u32_e64 s[0:1], 0, v4
	v_lshrrev_b32_e32 v7, 8, v9
	v_bfe_u32 v8, v9, 20, 11
	v_cndmask_b32_e64 v4, 0, 1, s[0:1]
	v_and_or_b32 v4, v7, s16, v4
	v_sub_u32_e32 v12, 0x3f1, v8
	v_or_b32_e32 v7, 0x1000, v4
	v_med3_i32 v12, v12, 0, 13
	v_lshrrev_b32_e32 v13, v12, v7
	v_lshlrev_b32_e32 v12, v12, v13
	v_cmp_ne_u32_e64 s[0:1], v12, v7
	v_add_u32_e32 v8, 0xfffffc10, v8
	v_lshl_or_b32 v12, v8, 12, v4
	v_cndmask_b32_e64 v7, 0, 1, s[0:1]
	v_or_b32_e32 v7, v13, v7
	v_cmp_gt_i32_e64 s[0:1], 1, v8
	v_fma_f16 v10, v111, v10, -v11
	v_cvt_f32_f16_e32 v10, v10
	v_cndmask_b32_e64 v7, v12, v7, s[0:1]
	v_and_b32_e32 v12, 7, v7
	v_cmp_lt_i32_e64 s[0:1], 5, v12
	v_cmp_eq_u32_e64 s[2:3], 3, v12
	v_lshrrev_b32_e32 v7, 2, v7
	s_or_b64 s[0:1], s[2:3], s[0:1]
	v_addc_co_u32_e64 v7, s[0:1], 0, v7, s[0:1]
	v_cmp_gt_i32_e64 s[0:1], 31, v8
	v_lshl_add_u64 v[2:3], v[2:3], 0, s[10:11]
	s_nop 0
	v_cndmask_b32_e64 v7, v6, v7, s[0:1]
	v_cmp_ne_u32_e64 s[0:1], 0, v4
	s_nop 1
	v_cndmask_b32_e64 v4, 0, 1, s[0:1]
	v_lshl_or_b32 v4, v4, 9, v6
	v_cmp_eq_u32_e64 s[0:1], s14, v8
	s_nop 1
	v_cndmask_b32_e64 v4, v7, v4, s[0:1]
	v_and_b32_sdwa v7, v9, s15 dst_sel:DWORD dst_unused:UNUSED_PAD src0_sel:WORD_1 src1_sel:DWORD
	v_cvt_f64_f32_e32 v[8:9], v10
	v_mul_f64 v[8:9], v[8:9], s[6:7]
	v_and_or_b32 v8, v9, s17, v8
	v_cmp_ne_u32_e64 s[0:1], 0, v8
	v_lshrrev_b32_e32 v10, 8, v9
	v_bfe_u32 v11, v9, 20, 11
	v_cndmask_b32_e64 v8, 0, 1, s[0:1]
	v_and_or_b32 v8, v10, s16, v8
	v_sub_u32_e32 v12, 0x3f1, v11
	v_or_b32_e32 v10, 0x1000, v8
	v_med3_i32 v12, v12, 0, 13
	v_lshrrev_b32_e32 v13, v12, v10
	v_lshlrev_b32_e32 v12, v12, v13
	v_cmp_ne_u32_e64 s[0:1], v12, v10
	v_add_u32_e32 v12, 0xfffffc10, v11
	v_lshl_or_b32 v11, v12, 12, v8
	v_cndmask_b32_e64 v10, 0, 1, s[0:1]
	v_or_b32_e32 v10, v13, v10
	v_cmp_gt_i32_e64 s[0:1], 1, v12
	v_lshrrev_b32_e32 v9, 16, v9
	v_bitop3_b32 v4, v7, s4, v4 bitop3:0xc8
	v_cndmask_b32_e64 v10, v11, v10, s[0:1]
	v_and_b32_e32 v11, 7, v10
	v_cmp_lt_i32_e64 s[0:1], 5, v11
	v_cmp_eq_u32_e64 s[2:3], 3, v11
	v_lshrrev_b32_e32 v10, 2, v10
	s_or_b64 s[0:1], s[2:3], s[0:1]
	v_addc_co_u32_e64 v10, s[0:1], 0, v10, s[0:1]
	v_cmp_gt_i32_e64 s[0:1], 31, v12
	s_nop 1
	v_cndmask_b32_e64 v13, v6, v10, s[0:1]
	ds_read2_b32 v[10:11], v79 offset0:94 offset1:193
	v_cmp_ne_u32_e64 s[0:1], 0, v8
	s_waitcnt lgkmcnt(0)
	v_lshrrev_b32_e32 v7, 16, v10
	v_cndmask_b32_e64 v8, 0, 1, s[0:1]
	v_lshl_or_b32 v8, v8, 9, v6
	v_cmp_eq_u32_e64 s[0:1], s14, v12
	s_nop 1
	v_cndmask_b32_e64 v8, v13, v8, s[0:1]
	v_and_or_b32 v8, v9, s15, v8
	v_mul_f16_sdwa v9, v110, v7 dst_sel:DWORD dst_unused:UNUSED_PAD src0_sel:WORD_1 src1_sel:DWORD
	v_fma_f16 v9, v110, v10, v9
	v_cvt_f32_f16_e32 v9, v9
	v_lshl_or_b32 v4, v8, 16, v4
	global_store_dword v[2:3], v4, off
	v_mul_f16_sdwa v10, v110, v10 dst_sel:DWORD dst_unused:UNUSED_PAD src0_sel:WORD_1 src1_sel:DWORD
	v_cvt_f64_f32_e32 v[8:9], v9
	v_mul_f64 v[8:9], v[8:9], s[6:7]
	v_and_or_b32 v4, v9, s17, v8
	v_cmp_ne_u32_e64 s[0:1], 0, v4
	v_lshrrev_b32_e32 v8, 8, v9
	v_bfe_u32 v12, v9, 20, 11
	v_cndmask_b32_e64 v4, 0, 1, s[0:1]
	v_and_or_b32 v4, v8, s16, v4
	v_sub_u32_e32 v13, 0x3f1, v12
	v_or_b32_e32 v8, 0x1000, v4
	v_med3_i32 v13, v13, 0, 13
	v_lshrrev_b32_e32 v14, v13, v8
	v_lshlrev_b32_e32 v13, v13, v14
	v_cmp_ne_u32_e64 s[0:1], v13, v8
	v_add_u32_e32 v12, 0xfffffc10, v12
	v_lshl_or_b32 v13, v12, 12, v4
	v_cndmask_b32_e64 v8, 0, 1, s[0:1]
	v_or_b32_e32 v8, v14, v8
	v_cmp_gt_i32_e64 s[0:1], 1, v12
	v_fma_f16 v7, v110, v7, -v10
	v_cvt_f32_f16_e32 v7, v7
	v_cndmask_b32_e64 v8, v13, v8, s[0:1]
	v_and_b32_e32 v13, 7, v8
	v_cmp_lt_i32_e64 s[0:1], 5, v13
	v_cmp_eq_u32_e64 s[2:3], 3, v13
	v_lshrrev_b32_e32 v8, 2, v8
	s_or_b64 s[0:1], s[2:3], s[0:1]
	v_addc_co_u32_e64 v8, s[0:1], 0, v8, s[0:1]
	v_cmp_gt_i32_e64 s[0:1], 31, v12
	v_and_b32_sdwa v10, v9, s15 dst_sel:DWORD dst_unused:UNUSED_PAD src0_sel:WORD_1 src1_sel:DWORD
	v_lshl_add_u64 v[2:3], v[2:3], 0, s[10:11]
	v_cndmask_b32_e64 v8, v6, v8, s[0:1]
	v_cmp_ne_u32_e64 s[0:1], 0, v4
	s_nop 1
	v_cndmask_b32_e64 v4, 0, 1, s[0:1]
	v_lshl_or_b32 v4, v4, 9, v6
	v_cmp_eq_u32_e64 s[0:1], s14, v12
	s_nop 1
	v_cndmask_b32_e64 v4, v8, v4, s[0:1]
	v_cvt_f64_f32_e32 v[8:9], v7
	v_mul_f64 v[8:9], v[8:9], s[6:7]
	v_and_or_b32 v7, v9, s17, v8
	v_cmp_ne_u32_e64 s[0:1], 0, v7
	v_lshrrev_b32_e32 v8, 8, v9
	v_bfe_u32 v12, v9, 20, 11
	v_cndmask_b32_e64 v7, 0, 1, s[0:1]
	v_and_or_b32 v7, v8, s16, v7
	v_sub_u32_e32 v13, 0x3f1, v12
	v_or_b32_e32 v8, 0x1000, v7
	v_med3_i32 v13, v13, 0, 13
	v_lshrrev_b32_e32 v14, v13, v8
	v_lshlrev_b32_e32 v13, v13, v14
	v_cmp_ne_u32_e64 s[0:1], v13, v8
	v_add_u32_e32 v12, 0xfffffc10, v12
	v_lshl_or_b32 v13, v12, 12, v7
	v_cndmask_b32_e64 v8, 0, 1, s[0:1]
	v_or_b32_e32 v8, v14, v8
	v_cmp_gt_i32_e64 s[0:1], 1, v12
	v_bitop3_b32 v4, v10, s4, v4 bitop3:0xc8
	v_lshrrev_b32_e32 v10, 16, v11
	v_cndmask_b32_e64 v8, v13, v8, s[0:1]
	v_and_b32_e32 v13, 7, v8
	v_cmp_lt_i32_e64 s[0:1], 5, v13
	v_cmp_eq_u32_e64 s[2:3], 3, v13
	v_lshrrev_b32_e32 v8, 2, v8
	s_or_b64 s[0:1], s[2:3], s[0:1]
	v_addc_co_u32_e64 v8, s[0:1], 0, v8, s[0:1]
	v_cmp_gt_i32_e64 s[0:1], 31, v12
	s_nop 1
	v_cndmask_b32_e64 v8, v6, v8, s[0:1]
	v_cmp_ne_u32_e64 s[0:1], 0, v7
	s_nop 1
	v_cndmask_b32_e64 v7, 0, 1, s[0:1]
	v_lshl_or_b32 v7, v7, 9, v6
	v_cmp_eq_u32_e64 s[0:1], s14, v12
	s_nop 1
	v_cndmask_b32_e64 v7, v8, v7, s[0:1]
	v_lshrrev_b32_e32 v8, 16, v9
	v_and_or_b32 v7, v8, s15, v7
	v_mul_f16_sdwa v8, v109, v10 dst_sel:DWORD dst_unused:UNUSED_PAD src0_sel:WORD_1 src1_sel:DWORD
	v_fma_f16 v8, v109, v11, v8
	v_cvt_f32_f16_e32 v8, v8
	v_lshl_or_b32 v4, v7, 16, v4
	global_store_dword v[2:3], v4, off
	v_mul_f16_sdwa v11, v109, v11 dst_sel:DWORD dst_unused:UNUSED_PAD src0_sel:WORD_1 src1_sel:DWORD
	v_cvt_f64_f32_e32 v[8:9], v8
	v_mul_f64 v[8:9], v[8:9], s[6:7]
	v_and_or_b32 v4, v9, s17, v8
	v_cmp_ne_u32_e64 s[0:1], 0, v4
	v_lshrrev_b32_e32 v7, 8, v9
	v_bfe_u32 v8, v9, 20, 11
	v_cndmask_b32_e64 v4, 0, 1, s[0:1]
	v_and_or_b32 v4, v7, s16, v4
	v_sub_u32_e32 v12, 0x3f1, v8
	v_or_b32_e32 v7, 0x1000, v4
	v_med3_i32 v12, v12, 0, 13
	v_lshrrev_b32_e32 v13, v12, v7
	v_lshlrev_b32_e32 v12, v12, v13
	v_cmp_ne_u32_e64 s[0:1], v12, v7
	v_add_u32_e32 v8, 0xfffffc10, v8
	v_lshl_or_b32 v12, v8, 12, v4
	v_cndmask_b32_e64 v7, 0, 1, s[0:1]
	v_or_b32_e32 v7, v13, v7
	v_cmp_gt_i32_e64 s[0:1], 1, v8
	v_fma_f16 v10, v109, v10, -v11
	v_cvt_f32_f16_e32 v10, v10
	v_cndmask_b32_e64 v7, v12, v7, s[0:1]
	v_and_b32_e32 v12, 7, v7
	v_cmp_lt_i32_e64 s[0:1], 5, v12
	v_cmp_eq_u32_e64 s[2:3], 3, v12
	v_lshrrev_b32_e32 v7, 2, v7
	s_or_b64 s[0:1], s[2:3], s[0:1]
	v_addc_co_u32_e64 v7, s[0:1], 0, v7, s[0:1]
	v_cmp_gt_i32_e64 s[0:1], 31, v8
	v_and_b32_sdwa v12, v9, s15 dst_sel:DWORD dst_unused:UNUSED_PAD src0_sel:WORD_1 src1_sel:DWORD
	v_lshl_add_u64 v[2:3], v[2:3], 0, s[10:11]
	v_cndmask_b32_e64 v7, v6, v7, s[0:1]
	v_cmp_ne_u32_e64 s[0:1], 0, v4
	s_nop 1
	v_cndmask_b32_e64 v4, 0, 1, s[0:1]
	v_cmp_eq_u32_e64 s[0:1], s14, v8
	v_cvt_f64_f32_e32 v[8:9], v10
	v_lshl_or_b32 v4, v4, 9, v6
	v_mul_f64 v[8:9], v[8:9], s[6:7]
	v_cndmask_b32_e64 v7, v7, v4, s[0:1]
	v_and_or_b32 v4, v9, s17, v8
	v_cmp_ne_u32_e64 s[0:1], 0, v4
	v_lshrrev_b32_e32 v8, 8, v9
	v_bfe_u32 v10, v9, 20, 11
	v_cndmask_b32_e64 v4, 0, 1, s[0:1]
	v_and_or_b32 v4, v8, s16, v4
	v_sub_u32_e32 v11, 0x3f1, v10
	v_or_b32_e32 v8, 0x1000, v4
	v_med3_i32 v11, v11, 0, 13
	v_lshrrev_b32_e32 v13, v11, v8
	v_lshlrev_b32_e32 v11, v11, v13
	v_cmp_ne_u32_e64 s[0:1], v11, v8
	v_lshrrev_b32_e32 v9, 16, v9
	v_bitop3_b32 v7, v12, s4, v7 bitop3:0xc8
	v_cndmask_b32_e64 v8, 0, 1, s[0:1]
	v_or_b32_e32 v8, v13, v8
	v_add_u32_e32 v13, 0xfffffc10, v10
	v_lshl_or_b32 v10, v13, 12, v4
	v_cmp_gt_i32_e64 s[0:1], 1, v13
	s_nop 1
	v_cndmask_b32_e64 v8, v10, v8, s[0:1]
	v_and_b32_e32 v10, 7, v8
	v_cmp_lt_i32_e64 s[0:1], 5, v10
	v_cmp_eq_u32_e64 s[2:3], 3, v10
	v_lshrrev_b32_e32 v8, 2, v8
	s_or_b64 s[0:1], s[2:3], s[0:1]
	v_addc_co_u32_e64 v8, s[0:1], 0, v8, s[0:1]
	v_cmp_gt_i32_e64 s[0:1], 31, v13
	s_nop 1
	v_cndmask_b32_e64 v8, v6, v8, s[0:1]
	v_cmp_ne_u32_e64 s[0:1], 0, v4
	s_nop 1
	v_cndmask_b32_e64 v4, 0, 1, s[0:1]
	v_lshl_or_b32 v14, v4, 9, v6
	v_add_u32_e32 v4, 0x1200, v16
	ds_read2_b32 v[10:11], v4 offset0:36 offset1:135
	v_cmp_eq_u32_e64 s[0:1], s14, v13
	s_waitcnt lgkmcnt(0)
	v_lshrrev_b32_e32 v12, 16, v10
	v_cndmask_b32_e64 v8, v8, v14, s[0:1]
	v_and_or_b32 v8, v9, s15, v8
	v_mul_f16_sdwa v9, v108, v12 dst_sel:DWORD dst_unused:UNUSED_PAD src0_sel:WORD_1 src1_sel:DWORD
	v_fma_f16 v9, v108, v10, v9
	v_cvt_f32_f16_e32 v9, v9
	v_lshl_or_b32 v7, v8, 16, v7
	global_store_dword v[2:3], v7, off
	v_mul_f16_sdwa v10, v108, v10 dst_sel:DWORD dst_unused:UNUSED_PAD src0_sel:WORD_1 src1_sel:DWORD
	v_cvt_f64_f32_e32 v[8:9], v9
	v_mul_f64 v[8:9], v[8:9], s[6:7]
	v_and_or_b32 v7, v9, s17, v8
	v_cmp_ne_u32_e64 s[0:1], 0, v7
	v_lshrrev_b32_e32 v8, 8, v9
	v_bfe_u32 v13, v9, 20, 11
	v_cndmask_b32_e64 v7, 0, 1, s[0:1]
	v_and_or_b32 v7, v8, s16, v7
	v_sub_u32_e32 v14, 0x3f1, v13
	v_or_b32_e32 v8, 0x1000, v7
	v_med3_i32 v14, v14, 0, 13
	v_lshrrev_b32_e32 v15, v14, v8
	v_lshlrev_b32_e32 v14, v14, v15
	v_cmp_ne_u32_e64 s[0:1], v14, v8
	v_add_u32_e32 v13, 0xfffffc10, v13
	v_lshl_or_b32 v14, v13, 12, v7
	v_cndmask_b32_e64 v8, 0, 1, s[0:1]
	v_or_b32_e32 v8, v15, v8
	v_cmp_gt_i32_e64 s[0:1], 1, v13
	v_fma_f16 v10, v108, v12, -v10
	v_cvt_f32_f16_e32 v10, v10
	v_cndmask_b32_e64 v8, v14, v8, s[0:1]
	v_and_b32_e32 v14, 7, v8
	v_cmp_lt_i32_e64 s[0:1], 5, v14
	v_cmp_eq_u32_e64 s[2:3], 3, v14
	v_lshrrev_b32_e32 v8, 2, v8
	s_or_b64 s[0:1], s[2:3], s[0:1]
	v_addc_co_u32_e64 v8, s[0:1], 0, v8, s[0:1]
	v_cmp_gt_i32_e64 s[0:1], 31, v13
	v_and_b32_sdwa v12, v9, s15 dst_sel:DWORD dst_unused:UNUSED_PAD src0_sel:WORD_1 src1_sel:DWORD
	v_lshl_add_u64 v[2:3], v[2:3], 0, s[10:11]
	v_cndmask_b32_e64 v8, v6, v8, s[0:1]
	v_cmp_ne_u32_e64 s[0:1], 0, v7
	s_nop 1
	v_cndmask_b32_e64 v7, 0, 1, s[0:1]
	v_lshl_or_b32 v7, v7, 9, v6
	v_cmp_eq_u32_e64 s[0:1], s14, v13
	s_nop 1
	v_cndmask_b32_e64 v7, v8, v7, s[0:1]
	v_cvt_f64_f32_e32 v[8:9], v10
	v_mul_f64 v[8:9], v[8:9], s[6:7]
	v_and_or_b32 v8, v9, s17, v8
	v_cmp_ne_u32_e64 s[0:1], 0, v8
	v_lshrrev_b32_e32 v10, 8, v9
	v_bfe_u32 v13, v9, 20, 11
	v_cndmask_b32_e64 v8, 0, 1, s[0:1]
	v_and_or_b32 v8, v10, s16, v8
	v_sub_u32_e32 v14, 0x3f1, v13
	v_or_b32_e32 v10, 0x1000, v8
	v_med3_i32 v14, v14, 0, 13
	v_lshrrev_b32_e32 v15, v14, v10
	v_lshlrev_b32_e32 v14, v14, v15
	v_cmp_ne_u32_e64 s[0:1], v14, v10
	v_add_u32_e32 v13, 0xfffffc10, v13
	v_lshl_or_b32 v14, v13, 12, v8
	v_cndmask_b32_e64 v10, 0, 1, s[0:1]
	v_or_b32_e32 v10, v15, v10
	v_cmp_gt_i32_e64 s[0:1], 1, v13
	v_lshrrev_b32_e32 v9, 16, v9
	v_bitop3_b32 v7, v12, s4, v7 bitop3:0xc8
	v_cndmask_b32_e64 v10, v14, v10, s[0:1]
	v_and_b32_e32 v14, 7, v10
	v_cmp_lt_i32_e64 s[0:1], 5, v14
	v_cmp_eq_u32_e64 s[2:3], 3, v14
	v_lshrrev_b32_e32 v10, 2, v10
	s_or_b64 s[0:1], s[2:3], s[0:1]
	v_addc_co_u32_e64 v10, s[0:1], 0, v10, s[0:1]
	v_cmp_gt_i32_e64 s[0:1], 31, v13
	s_nop 1
	v_cndmask_b32_e64 v10, v6, v10, s[0:1]
	v_cmp_ne_u32_e64 s[0:1], 0, v8
	s_nop 1
	v_cndmask_b32_e64 v8, 0, 1, s[0:1]
	v_lshl_or_b32 v8, v8, 9, v6
	v_cmp_eq_u32_e64 s[0:1], s14, v13
	s_nop 1
	v_cndmask_b32_e64 v8, v10, v8, s[0:1]
	v_lshrrev_b32_e32 v10, 16, v11
	v_and_or_b32 v8, v9, s15, v8
	v_mul_f16_sdwa v9, v107, v10 dst_sel:DWORD dst_unused:UNUSED_PAD src0_sel:WORD_1 src1_sel:DWORD
	v_fma_f16 v9, v107, v11, v9
	v_cvt_f32_f16_e32 v9, v9
	v_lshl_or_b32 v7, v8, 16, v7
	global_store_dword v[2:3], v7, off
	v_mul_f16_sdwa v11, v107, v11 dst_sel:DWORD dst_unused:UNUSED_PAD src0_sel:WORD_1 src1_sel:DWORD
	v_cvt_f64_f32_e32 v[8:9], v9
	v_mul_f64 v[8:9], v[8:9], s[6:7]
	v_and_or_b32 v7, v9, s17, v8
	v_cmp_ne_u32_e64 s[0:1], 0, v7
	v_lshrrev_b32_e32 v8, 8, v9
	v_bfe_u32 v12, v9, 20, 11
	v_cndmask_b32_e64 v7, 0, 1, s[0:1]
	v_and_or_b32 v7, v8, s16, v7
	v_sub_u32_e32 v13, 0x3f1, v12
	v_or_b32_e32 v8, 0x1000, v7
	v_med3_i32 v13, v13, 0, 13
	v_lshrrev_b32_e32 v14, v13, v8
	v_lshlrev_b32_e32 v13, v13, v14
	v_cmp_ne_u32_e64 s[0:1], v13, v8
	v_add_u32_e32 v12, 0xfffffc10, v12
	v_lshl_or_b32 v13, v12, 12, v7
	v_cndmask_b32_e64 v8, 0, 1, s[0:1]
	v_or_b32_e32 v8, v14, v8
	v_cmp_gt_i32_e64 s[0:1], 1, v12
	v_fma_f16 v10, v107, v10, -v11
	v_cvt_f32_f16_e32 v10, v10
	v_cndmask_b32_e64 v8, v13, v8, s[0:1]
	v_and_b32_e32 v13, 7, v8
	v_cmp_lt_i32_e64 s[0:1], 5, v13
	v_cmp_eq_u32_e64 s[2:3], 3, v13
	v_lshrrev_b32_e32 v8, 2, v8
	s_or_b64 s[0:1], s[2:3], s[0:1]
	v_addc_co_u32_e64 v8, s[0:1], 0, v8, s[0:1]
	v_cmp_gt_i32_e64 s[0:1], 31, v12
	v_lshl_add_u64 v[2:3], v[2:3], 0, s[10:11]
	s_nop 0
	v_cndmask_b32_e64 v8, v6, v8, s[0:1]
	v_cmp_ne_u32_e64 s[0:1], 0, v7
	s_nop 1
	v_cndmask_b32_e64 v7, 0, 1, s[0:1]
	v_lshl_or_b32 v7, v7, 9, v6
	v_cmp_eq_u32_e64 s[0:1], s14, v12
	v_and_b32_sdwa v12, v9, s15 dst_sel:DWORD dst_unused:UNUSED_PAD src0_sel:WORD_1 src1_sel:DWORD
	s_nop 0
	v_cndmask_b32_e64 v7, v8, v7, s[0:1]
	v_cvt_f64_f32_e32 v[8:9], v10
	v_mul_f64 v[8:9], v[8:9], s[6:7]
	v_and_or_b32 v8, v9, s17, v8
	v_cmp_ne_u32_e64 s[0:1], 0, v8
	v_lshrrev_b32_e32 v10, 8, v9
	v_bfe_u32 v11, v9, 20, 11
	v_cndmask_b32_e64 v8, 0, 1, s[0:1]
	v_and_or_b32 v8, v10, s16, v8
	v_sub_u32_e32 v13, 0x3f1, v11
	v_or_b32_e32 v10, 0x1000, v8
	v_med3_i32 v13, v13, 0, 13
	v_lshrrev_b32_e32 v14, v13, v10
	v_lshlrev_b32_e32 v13, v13, v14
	v_cmp_ne_u32_e64 s[0:1], v13, v10
	v_add_u32_e32 v13, 0xfffffc10, v11
	v_lshl_or_b32 v11, v13, 12, v8
	v_cndmask_b32_e64 v10, 0, 1, s[0:1]
	v_or_b32_e32 v10, v14, v10
	v_cmp_gt_i32_e64 s[0:1], 1, v13
	v_lshrrev_b32_e32 v9, 16, v9
	v_bitop3_b32 v7, v12, s4, v7 bitop3:0xc8
	v_cndmask_b32_e64 v10, v11, v10, s[0:1]
	v_and_b32_e32 v11, 7, v10
	v_cmp_lt_i32_e64 s[0:1], 5, v11
	v_cmp_eq_u32_e64 s[2:3], 3, v11
	v_lshrrev_b32_e32 v10, 2, v10
	s_or_b64 s[0:1], s[2:3], s[0:1]
	v_addc_co_u32_e64 v10, s[0:1], 0, v10, s[0:1]
	v_cmp_gt_i32_e64 s[0:1], 31, v13
	s_nop 1
	v_cndmask_b32_e64 v14, v6, v10, s[0:1]
	ds_read2_b32 v[10:11], v78 offset0:106 offset1:205
	v_cmp_ne_u32_e64 s[0:1], 0, v8
	s_waitcnt lgkmcnt(0)
	v_lshrrev_b32_e32 v12, 16, v10
	v_cndmask_b32_e64 v8, 0, 1, s[0:1]
	v_lshl_or_b32 v8, v8, 9, v6
	v_cmp_eq_u32_e64 s[0:1], s14, v13
	s_nop 1
	v_cndmask_b32_e64 v8, v14, v8, s[0:1]
	v_and_or_b32 v8, v9, s15, v8
	v_mul_f16_sdwa v9, v106, v12 dst_sel:DWORD dst_unused:UNUSED_PAD src0_sel:WORD_1 src1_sel:DWORD
	v_fma_f16 v9, v106, v10, v9
	v_cvt_f32_f16_e32 v9, v9
	v_lshl_or_b32 v7, v8, 16, v7
	global_store_dword v[2:3], v7, off
	v_mul_f16_sdwa v10, v106, v10 dst_sel:DWORD dst_unused:UNUSED_PAD src0_sel:WORD_1 src1_sel:DWORD
	v_cvt_f64_f32_e32 v[8:9], v9
	v_mul_f64 v[8:9], v[8:9], s[6:7]
	v_and_or_b32 v7, v9, s17, v8
	v_cmp_ne_u32_e64 s[0:1], 0, v7
	v_lshrrev_b32_e32 v8, 8, v9
	v_bfe_u32 v13, v9, 20, 11
	v_cndmask_b32_e64 v7, 0, 1, s[0:1]
	v_and_or_b32 v7, v8, s16, v7
	v_sub_u32_e32 v14, 0x3f1, v13
	v_or_b32_e32 v8, 0x1000, v7
	v_med3_i32 v14, v14, 0, 13
	v_lshrrev_b32_e32 v15, v14, v8
	v_lshlrev_b32_e32 v14, v14, v15
	v_cmp_ne_u32_e64 s[0:1], v14, v8
	v_add_u32_e32 v13, 0xfffffc10, v13
	v_lshl_or_b32 v14, v13, 12, v7
	v_cndmask_b32_e64 v8, 0, 1, s[0:1]
	v_or_b32_e32 v8, v15, v8
	v_cmp_gt_i32_e64 s[0:1], 1, v13
	v_fma_f16 v10, v106, v12, -v10
	v_cvt_f32_f16_e32 v10, v10
	v_cndmask_b32_e64 v8, v14, v8, s[0:1]
	v_and_b32_e32 v14, 7, v8
	v_cmp_lt_i32_e64 s[0:1], 5, v14
	v_cmp_eq_u32_e64 s[2:3], 3, v14
	v_lshrrev_b32_e32 v8, 2, v8
	s_or_b64 s[0:1], s[2:3], s[0:1]
	v_addc_co_u32_e64 v8, s[0:1], 0, v8, s[0:1]
	v_cmp_gt_i32_e64 s[0:1], 31, v13
	v_and_b32_sdwa v12, v9, s15 dst_sel:DWORD dst_unused:UNUSED_PAD src0_sel:WORD_1 src1_sel:DWORD
	v_lshl_add_u64 v[2:3], v[2:3], 0, s[10:11]
	v_cndmask_b32_e64 v8, v6, v8, s[0:1]
	v_cmp_ne_u32_e64 s[0:1], 0, v7
	s_nop 1
	v_cndmask_b32_e64 v7, 0, 1, s[0:1]
	v_lshl_or_b32 v7, v7, 9, v6
	v_cmp_eq_u32_e64 s[0:1], s14, v13
	s_nop 1
	v_cndmask_b32_e64 v7, v8, v7, s[0:1]
	v_cvt_f64_f32_e32 v[8:9], v10
	v_mul_f64 v[8:9], v[8:9], s[6:7]
	v_and_or_b32 v8, v9, s17, v8
	v_cmp_ne_u32_e64 s[0:1], 0, v8
	v_lshrrev_b32_e32 v10, 8, v9
	v_bfe_u32 v13, v9, 20, 11
	v_cndmask_b32_e64 v8, 0, 1, s[0:1]
	v_and_or_b32 v8, v10, s16, v8
	v_sub_u32_e32 v14, 0x3f1, v13
	v_or_b32_e32 v10, 0x1000, v8
	v_med3_i32 v14, v14, 0, 13
	v_lshrrev_b32_e32 v15, v14, v10
	v_lshlrev_b32_e32 v14, v14, v15
	v_cmp_ne_u32_e64 s[0:1], v14, v10
	v_add_u32_e32 v13, 0xfffffc10, v13
	v_lshl_or_b32 v14, v13, 12, v8
	v_cndmask_b32_e64 v10, 0, 1, s[0:1]
	v_or_b32_e32 v10, v15, v10
	v_cmp_gt_i32_e64 s[0:1], 1, v13
	v_lshrrev_b32_e32 v9, 16, v9
	v_bitop3_b32 v7, v12, s4, v7 bitop3:0xc8
	v_cndmask_b32_e64 v10, v14, v10, s[0:1]
	v_and_b32_e32 v14, 7, v10
	v_cmp_lt_i32_e64 s[0:1], 5, v14
	v_cmp_eq_u32_e64 s[2:3], 3, v14
	v_lshrrev_b32_e32 v10, 2, v10
	s_or_b64 s[0:1], s[2:3], s[0:1]
	v_addc_co_u32_e64 v10, s[0:1], 0, v10, s[0:1]
	v_cmp_gt_i32_e64 s[0:1], 31, v13
	s_nop 1
	v_cndmask_b32_e64 v10, v6, v10, s[0:1]
	v_cmp_ne_u32_e64 s[0:1], 0, v8
	s_nop 1
	v_cndmask_b32_e64 v8, 0, 1, s[0:1]
	v_lshl_or_b32 v8, v8, 9, v6
	v_cmp_eq_u32_e64 s[0:1], s14, v13
	s_nop 1
	v_cndmask_b32_e64 v8, v10, v8, s[0:1]
	v_lshrrev_b32_e32 v10, 16, v11
	v_and_or_b32 v8, v9, s15, v8
	v_mul_f16_sdwa v9, v23, v10 dst_sel:DWORD dst_unused:UNUSED_PAD src0_sel:WORD_1 src1_sel:DWORD
	v_fma_f16 v9, v23, v11, v9
	v_cvt_f32_f16_e32 v9, v9
	v_lshl_or_b32 v7, v8, 16, v7
	global_store_dword v[2:3], v7, off
	v_mul_f16_sdwa v11, v23, v11 dst_sel:DWORD dst_unused:UNUSED_PAD src0_sel:WORD_1 src1_sel:DWORD
	v_cvt_f64_f32_e32 v[8:9], v9
	v_mul_f64 v[8:9], v[8:9], s[6:7]
	v_and_or_b32 v7, v9, s17, v8
	v_cmp_ne_u32_e64 s[0:1], 0, v7
	v_lshrrev_b32_e32 v8, 8, v9
	v_bfe_u32 v12, v9, 20, 11
	v_cndmask_b32_e64 v7, 0, 1, s[0:1]
	v_and_or_b32 v7, v8, s16, v7
	v_sub_u32_e32 v13, 0x3f1, v12
	v_or_b32_e32 v8, 0x1000, v7
	v_med3_i32 v13, v13, 0, 13
	v_lshrrev_b32_e32 v14, v13, v8
	v_lshlrev_b32_e32 v13, v13, v14
	v_cmp_ne_u32_e64 s[0:1], v13, v8
	v_add_u32_e32 v12, 0xfffffc10, v12
	v_lshl_or_b32 v13, v12, 12, v7
	v_cndmask_b32_e64 v8, 0, 1, s[0:1]
	v_or_b32_e32 v8, v14, v8
	v_cmp_gt_i32_e64 s[0:1], 1, v12
	v_fma_f16 v10, v23, v10, -v11
	v_cvt_f32_f16_e32 v10, v10
	v_cndmask_b32_e64 v8, v13, v8, s[0:1]
	v_and_b32_e32 v13, 7, v8
	v_cmp_lt_i32_e64 s[0:1], 5, v13
	v_cmp_eq_u32_e64 s[2:3], 3, v13
	v_lshrrev_b32_e32 v8, 2, v8
	s_or_b64 s[0:1], s[2:3], s[0:1]
	v_addc_co_u32_e64 v8, s[0:1], 0, v8, s[0:1]
	v_cmp_gt_i32_e64 s[0:1], 31, v12
	v_and_b32_sdwa v11, v9, s15 dst_sel:DWORD dst_unused:UNUSED_PAD src0_sel:WORD_1 src1_sel:DWORD
	v_lshl_add_u64 v[2:3], v[2:3], 0, s[10:11]
	v_cndmask_b32_e64 v8, v6, v8, s[0:1]
	v_cmp_ne_u32_e64 s[0:1], 0, v7
	s_nop 1
	v_cndmask_b32_e64 v7, 0, 1, s[0:1]
	v_lshl_or_b32 v7, v7, 9, v6
	v_cmp_eq_u32_e64 s[0:1], s14, v12
	s_nop 1
	v_cndmask_b32_e64 v7, v8, v7, s[0:1]
	v_cvt_f64_f32_e32 v[8:9], v10
	v_mul_f64 v[8:9], v[8:9], s[6:7]
	v_and_or_b32 v8, v9, s17, v8
	v_cmp_ne_u32_e64 s[0:1], 0, v8
	v_lshrrev_b32_e32 v10, 8, v9
	v_bfe_u32 v12, v9, 20, 11
	v_cndmask_b32_e64 v8, 0, 1, s[0:1]
	v_and_or_b32 v8, v10, s16, v8
	v_sub_u32_e32 v13, 0x3f1, v12
	v_or_b32_e32 v10, 0x1000, v8
	v_med3_i32 v13, v13, 0, 13
	v_lshrrev_b32_e32 v14, v13, v10
	v_lshlrev_b32_e32 v13, v13, v14
	v_cmp_ne_u32_e64 s[0:1], v13, v10
	v_add_u32_e32 v12, 0xfffffc10, v12
	v_lshl_or_b32 v13, v12, 12, v8
	v_cndmask_b32_e64 v10, 0, 1, s[0:1]
	v_or_b32_e32 v10, v14, v10
	v_cmp_gt_i32_e64 s[0:1], 1, v12
	v_lshrrev_b32_e32 v9, 16, v9
	v_bitop3_b32 v7, v11, s4, v7 bitop3:0xc8
	v_cndmask_b32_e64 v10, v13, v10, s[0:1]
	v_and_b32_e32 v13, 7, v10
	v_cmp_lt_i32_e64 s[0:1], 5, v13
	v_cmp_eq_u32_e64 s[2:3], 3, v13
	v_lshrrev_b32_e32 v10, 2, v10
	s_or_b64 s[0:1], s[2:3], s[0:1]
	v_addc_co_u32_e64 v10, s[0:1], 0, v10, s[0:1]
	ds_read_b32 v13, v16 offset:6336
	v_cmp_gt_i32_e64 s[0:1], 31, v12
	s_nop 1
	v_cndmask_b32_e64 v10, v6, v10, s[0:1]
	v_cmp_ne_u32_e64 s[0:1], 0, v8
	s_nop 1
	v_cndmask_b32_e64 v8, 0, 1, s[0:1]
	v_lshl_or_b32 v8, v8, 9, v6
	v_cmp_eq_u32_e64 s[0:1], s14, v12
	s_nop 1
	v_cndmask_b32_e64 v8, v10, v8, s[0:1]
	s_waitcnt lgkmcnt(0)
	v_lshrrev_b32_e32 v10, 16, v13
	v_and_or_b32 v8, v9, s15, v8
	v_mul_f16_sdwa v9, v17, v10 dst_sel:DWORD dst_unused:UNUSED_PAD src0_sel:WORD_1 src1_sel:DWORD
	v_fma_f16 v9, v17, v13, v9
	v_cvt_f32_f16_e32 v9, v9
	v_lshl_or_b32 v7, v8, 16, v7
	global_store_dword v[2:3], v7, off
	v_lshl_add_u64 v[2:3], v[2:3], 0, s[10:11]
	v_cvt_f64_f32_e32 v[8:9], v9
	v_mul_f64 v[8:9], v[8:9], s[6:7]
	v_and_or_b32 v7, v9, s17, v8
	v_cmp_ne_u32_e64 s[0:1], 0, v7
	v_lshrrev_b32_e32 v8, 8, v9
	v_bfe_u32 v11, v9, 20, 11
	v_cndmask_b32_e64 v7, 0, 1, s[0:1]
	v_and_or_b32 v7, v8, s16, v7
	v_sub_u32_e32 v12, 0x3f1, v11
	v_or_b32_e32 v8, 0x1000, v7
	v_med3_i32 v12, v12, 0, 13
	v_lshrrev_b32_e32 v14, v12, v8
	v_lshlrev_b32_e32 v12, v12, v14
	v_cmp_ne_u32_e64 s[0:1], v12, v8
	v_add_u32_e32 v11, 0xfffffc10, v11
	v_lshl_or_b32 v12, v11, 12, v7
	v_cndmask_b32_e64 v8, 0, 1, s[0:1]
	v_or_b32_e32 v8, v14, v8
	v_cmp_gt_i32_e64 s[0:1], 1, v11
	s_nop 1
	v_cndmask_b32_e64 v8, v12, v8, s[0:1]
	v_and_b32_e32 v12, 7, v8
	v_cmp_lt_i32_e64 s[0:1], 5, v12
	v_cmp_eq_u32_e64 s[2:3], 3, v12
	v_lshrrev_b32_e32 v8, 2, v8
	s_or_b64 s[0:1], s[2:3], s[0:1]
	v_mul_f16_sdwa v12, v17, v13 dst_sel:DWORD dst_unused:UNUSED_PAD src0_sel:WORD_1 src1_sel:DWORD
	v_addc_co_u32_e64 v8, s[0:1], 0, v8, s[0:1]
	v_fma_f16 v10, v17, v10, -v12
	v_cmp_gt_i32_e64 s[0:1], 31, v11
	v_cvt_f32_f16_e32 v10, v10
	s_nop 0
	v_cndmask_b32_e64 v8, v6, v8, s[0:1]
	v_cmp_ne_u32_e64 s[0:1], 0, v7
	s_nop 1
	v_cndmask_b32_e64 v7, 0, 1, s[0:1]
	v_lshl_or_b32 v7, v7, 9, v6
	v_cmp_eq_u32_e64 s[0:1], s14, v11
	v_and_b32_sdwa v11, v9, s15 dst_sel:DWORD dst_unused:UNUSED_PAD src0_sel:WORD_1 src1_sel:DWORD
	s_nop 0
	v_cndmask_b32_e64 v7, v8, v7, s[0:1]
	v_cvt_f64_f32_e32 v[8:9], v10
	v_mul_f64 v[8:9], v[8:9], s[6:7]
	v_and_or_b32 v8, v9, s17, v8
	v_cmp_ne_u32_e64 s[0:1], 0, v8
	v_lshrrev_b32_e32 v10, 8, v9
	v_bfe_u32 v12, v9, 20, 11
	v_cndmask_b32_e64 v8, 0, 1, s[0:1]
	v_and_or_b32 v8, v10, s16, v8
	v_sub_u32_e32 v13, 0x3f1, v12
	v_or_b32_e32 v10, 0x1000, v8
	v_med3_i32 v13, v13, 0, 13
	v_lshrrev_b32_e32 v14, v13, v10
	v_lshlrev_b32_e32 v13, v13, v14
	v_cmp_ne_u32_e64 s[0:1], v13, v10
	v_add_u32_e32 v12, 0xfffffc10, v12
	v_lshl_or_b32 v13, v12, 12, v8
	v_cndmask_b32_e64 v10, 0, 1, s[0:1]
	v_or_b32_e32 v10, v14, v10
	v_cmp_gt_i32_e64 s[0:1], 1, v12
	v_lshrrev_b32_e32 v9, 16, v9
	v_bitop3_b32 v7, v11, s4, v7 bitop3:0xc8
	v_cndmask_b32_e64 v10, v13, v10, s[0:1]
	v_and_b32_e32 v13, 7, v10
	v_cmp_lt_i32_e64 s[0:1], 5, v13
	v_cmp_eq_u32_e64 s[2:3], 3, v13
	v_lshrrev_b32_e32 v10, 2, v10
	s_or_b64 s[0:1], s[2:3], s[0:1]
	v_addc_co_u32_e64 v10, s[0:1], 0, v10, s[0:1]
	v_cmp_gt_i32_e64 s[0:1], 31, v12
	s_nop 1
	v_cndmask_b32_e64 v10, v6, v10, s[0:1]
	v_cmp_ne_u32_e64 s[0:1], 0, v8
	s_nop 1
	v_cndmask_b32_e64 v8, 0, 1, s[0:1]
	v_lshl_or_b32 v8, v8, 9, v6
	v_cmp_eq_u32_e64 s[0:1], s14, v12
	s_nop 1
	v_cndmask_b32_e64 v8, v10, v8, s[0:1]
	v_and_or_b32 v8, v9, s15, v8
	v_lshl_or_b32 v7, v8, 16, v7
	global_store_dword v[2:3], v7, off
	s_and_b64 exec, exec, vcc
	s_cbranch_execz .LBB0_15
; %bb.14:
	global_load_dword v7, v[20:21], off offset:204
	ds_read2_b32 v[8:9], v16 offset0:51 offset1:150
	v_mov_b32_e32 v10, 0xffffe80c
	v_mad_u64_u32 v[2:3], s[0:1], s8, v10, v[2:3]
	s_mul_i32 s2, s9, 0xffffe80c
	s_waitcnt lgkmcnt(0)
	v_lshrrev_b32_e32 v10, 16, v8
	s_sub_i32 s0, s2, s8
	v_add_u32_e32 v3, s0, v3
	s_mov_b32 s19, 0xffff
	s_waitcnt vmcnt(0)
	v_mul_f16_sdwa v11, v10, v7 dst_sel:DWORD dst_unused:UNUSED_PAD src0_sel:DWORD src1_sel:WORD_1
	v_mul_f16_sdwa v12, v8, v7 dst_sel:DWORD dst_unused:UNUSED_PAD src0_sel:DWORD src1_sel:WORD_1
	v_fma_f16 v8, v8, v7, v11
	v_fma_f16 v7, v7, v10, -v12
	v_cvt_f32_f16_e32 v8, v8
	v_cvt_f32_f16_e32 v7, v7
	v_cvt_f64_f32_e32 v[10:11], v8
	v_cvt_f64_f32_e32 v[12:13], v7
	v_mul_f64 v[10:11], v[10:11], s[6:7]
	v_mul_f64 v[12:13], v[12:13], s[6:7]
	v_and_or_b32 v7, v11, s17, v10
	v_and_or_b32 v12, v13, s17, v12
	v_cmp_ne_u32_e32 vcc, 0, v7
	v_lshrrev_b32_e32 v8, 8, v11
	v_bfe_u32 v10, v11, 20, 11
	v_cndmask_b32_e64 v7, 0, 1, vcc
	v_cmp_ne_u32_e32 vcc, 0, v12
	v_lshrrev_b32_e32 v14, 8, v13
	v_bfe_u32 v15, v13, 20, 11
	v_sub_u32_e32 v17, 0x3f1, v10
	v_cndmask_b32_e64 v12, 0, 1, vcc
	v_and_or_b32 v7, v8, s16, v7
	v_sub_u32_e32 v22, 0x3f1, v15
	v_med3_i32 v8, v17, 0, 13
	v_and_or_b32 v12, v14, s16, v12
	v_or_b32_e32 v17, 0x1000, v7
	v_add_u32_e32 v10, 0xfffffc10, v10
	v_med3_i32 v14, v22, 0, 13
	v_cmp_ne_u32_e32 vcc, 0, v7
	v_or_b32_e32 v23, 0x1000, v12
	v_lshrrev_b32_e32 v25, v8, v17
	v_add_u32_e32 v15, 0xfffffc10, v15
	v_lshl_or_b32 v22, v10, 12, v7
	v_cndmask_b32_e64 v7, 0, 1, vcc
	v_cmp_ne_u32_e32 vcc, 0, v12
	v_lshrrev_b32_e32 v26, v14, v23
	v_lshlrev_b32_e32 v8, v8, v25
	v_lshl_or_b32 v24, v15, 12, v12
	v_cndmask_b32_e64 v12, 0, 1, vcc
	v_lshlrev_b32_e32 v14, v14, v26
	v_cmp_ne_u32_e32 vcc, v8, v17
	v_lshl_or_b32 v7, v7, 9, v6
	v_lshl_or_b32 v12, v12, 9, v6
	v_cndmask_b32_e64 v8, 0, 1, vcc
	v_cmp_ne_u32_e32 vcc, v14, v23
	v_or_b32_e32 v8, v25, v8
	v_and_b32_sdwa v11, v11, s15 dst_sel:DWORD dst_unused:UNUSED_PAD src0_sel:WORD_1 src1_sel:DWORD
	v_cndmask_b32_e64 v14, 0, 1, vcc
	v_cmp_gt_i32_e32 vcc, 1, v10
	v_or_b32_e32 v14, v26, v14
	v_lshrrev_b32_e32 v13, 16, v13
	v_cndmask_b32_e32 v8, v22, v8, vcc
	v_cmp_gt_i32_e32 vcc, 1, v15
	v_and_b32_e32 v17, 7, v8
	v_cmp_eq_u32_e64 s[0:1], 3, v17
	v_cndmask_b32_e32 v14, v24, v14, vcc
	v_cmp_lt_i32_e32 vcc, 5, v17
	v_lshrrev_b32_e32 v8, 2, v8
	v_and_b32_e32 v22, 7, v14
	s_or_b64 vcc, s[0:1], vcc
	v_cmp_lt_i32_e64 s[2:3], 5, v22
	v_cmp_eq_u32_e64 s[4:5], 3, v22
	v_addc_co_u32_e32 v8, vcc, 0, v8, vcc
	v_lshrrev_b32_e32 v14, 2, v14
	s_or_b64 vcc, s[4:5], s[2:3]
	v_addc_co_u32_e32 v14, vcc, 0, v14, vcc
	v_cmp_gt_i32_e32 vcc, 31, v10
	s_nop 1
	v_cndmask_b32_e32 v8, v6, v8, vcc
	v_cmp_gt_i32_e32 vcc, 31, v15
	s_nop 1
	v_cndmask_b32_e32 v14, v6, v14, vcc
	v_cmp_eq_u32_e32 vcc, s14, v10
	s_nop 1
	v_cndmask_b32_e32 v7, v8, v7, vcc
	v_cmp_eq_u32_e32 vcc, s14, v15
	v_bitop3_b32 v7, v11, s19, v7 bitop3:0xc8
	s_nop 0
	v_cndmask_b32_e32 v8, v14, v12, vcc
	v_and_or_b32 v8, v13, s15, v8
	v_lshl_or_b32 v7, v8, 16, v7
	global_store_dword v[2:3], v7, off
	global_load_dword v7, v[20:21], off offset:600
	v_lshrrev_b32_e32 v8, 16, v9
	v_lshl_add_u64 v[2:3], v[2:3], 0, s[10:11]
	s_waitcnt vmcnt(0)
	v_mul_f16_sdwa v10, v8, v7 dst_sel:DWORD dst_unused:UNUSED_PAD src0_sel:DWORD src1_sel:WORD_1
	v_mul_f16_sdwa v11, v9, v7 dst_sel:DWORD dst_unused:UNUSED_PAD src0_sel:DWORD src1_sel:WORD_1
	v_fma_f16 v9, v9, v7, v10
	v_fma_f16 v7, v7, v8, -v11
	v_cvt_f32_f16_e32 v8, v9
	v_cvt_f32_f16_e32 v7, v7
	v_cvt_f64_f32_e32 v[8:9], v8
	v_cvt_f64_f32_e32 v[10:11], v7
	v_mul_f64 v[8:9], v[8:9], s[6:7]
	v_mul_f64 v[10:11], v[10:11], s[6:7]
	v_and_or_b32 v7, v9, s17, v8
	v_and_or_b32 v10, v11, s17, v10
	v_cmp_ne_u32_e32 vcc, 0, v7
	v_lshrrev_b32_e32 v8, 8, v9
	v_bfe_u32 v12, v9, 20, 11
	v_cndmask_b32_e64 v7, 0, 1, vcc
	v_cmp_ne_u32_e32 vcc, 0, v10
	v_lshrrev_b32_e32 v13, 8, v11
	v_bfe_u32 v14, v11, 20, 11
	v_sub_u32_e32 v15, 0x3f1, v12
	v_cndmask_b32_e64 v10, 0, 1, vcc
	v_and_or_b32 v7, v8, s16, v7
	v_sub_u32_e32 v17, 0x3f1, v14
	v_med3_i32 v8, v15, 0, 13
	v_and_or_b32 v10, v13, s16, v10
	v_or_b32_e32 v15, 0x1000, v7
	v_add_u32_e32 v12, 0xfffffc10, v12
	v_med3_i32 v13, v17, 0, 13
	v_cmp_ne_u32_e32 vcc, 0, v7
	v_or_b32_e32 v22, 0x1000, v10
	v_lshrrev_b32_e32 v24, v8, v15
	v_add_u32_e32 v14, 0xfffffc10, v14
	v_lshl_or_b32 v17, v12, 12, v7
	v_cndmask_b32_e64 v7, 0, 1, vcc
	v_cmp_ne_u32_e32 vcc, 0, v10
	v_lshrrev_b32_e32 v25, v13, v22
	v_lshlrev_b32_e32 v8, v8, v24
	v_lshl_or_b32 v23, v14, 12, v10
	v_cndmask_b32_e64 v10, 0, 1, vcc
	v_lshlrev_b32_e32 v13, v13, v25
	v_cmp_ne_u32_e32 vcc, v8, v15
	v_lshl_or_b32 v7, v7, 9, v6
	v_lshl_or_b32 v10, v10, 9, v6
	v_cndmask_b32_e64 v8, 0, 1, vcc
	v_cmp_ne_u32_e32 vcc, v13, v22
	v_or_b32_e32 v8, v24, v8
	v_and_b32_sdwa v9, v9, s15 dst_sel:DWORD dst_unused:UNUSED_PAD src0_sel:WORD_1 src1_sel:DWORD
	v_cndmask_b32_e64 v13, 0, 1, vcc
	v_cmp_gt_i32_e32 vcc, 1, v12
	v_or_b32_e32 v13, v25, v13
	v_lshrrev_b32_e32 v11, 16, v11
	v_cndmask_b32_e32 v8, v17, v8, vcc
	v_cmp_gt_i32_e32 vcc, 1, v14
	v_and_b32_e32 v15, 7, v8
	v_cmp_eq_u32_e64 s[0:1], 3, v15
	v_cndmask_b32_e32 v13, v23, v13, vcc
	v_cmp_lt_i32_e32 vcc, 5, v15
	v_lshrrev_b32_e32 v8, 2, v8
	v_and_b32_e32 v17, 7, v13
	s_or_b64 vcc, s[0:1], vcc
	v_cmp_lt_i32_e64 s[2:3], 5, v17
	v_cmp_eq_u32_e64 s[4:5], 3, v17
	v_addc_co_u32_e32 v8, vcc, 0, v8, vcc
	v_lshrrev_b32_e32 v13, 2, v13
	s_or_b64 vcc, s[4:5], s[2:3]
	v_addc_co_u32_e32 v13, vcc, 0, v13, vcc
	v_cmp_gt_i32_e32 vcc, 31, v12
	s_nop 1
	v_cndmask_b32_e32 v8, v6, v8, vcc
	v_cmp_gt_i32_e32 vcc, 31, v14
	s_nop 1
	v_cndmask_b32_e32 v13, v6, v13, vcc
	v_cmp_eq_u32_e32 vcc, s14, v12
	s_nop 1
	v_cndmask_b32_e32 v7, v8, v7, vcc
	v_cmp_eq_u32_e32 vcc, s14, v14
	v_bitop3_b32 v7, v9, s19, v7 bitop3:0xc8
	s_nop 0
	v_cndmask_b32_e32 v8, v13, v10, vcc
	v_and_or_b32 v8, v11, s15, v8
	v_lshl_or_b32 v7, v8, 16, v7
	global_store_dword v[2:3], v7, off
	global_load_dword v7, v[20:21], off offset:996
	ds_read2_b32 v[8:9], v5 offset0:121 offset1:220
	v_lshl_add_u64 v[2:3], v[2:3], 0, s[10:11]
	s_waitcnt lgkmcnt(0)
	v_lshrrev_b32_e32 v5, 16, v8
	s_waitcnt vmcnt(0)
	v_mul_f16_sdwa v10, v5, v7 dst_sel:DWORD dst_unused:UNUSED_PAD src0_sel:DWORD src1_sel:WORD_1
	v_mul_f16_sdwa v11, v8, v7 dst_sel:DWORD dst_unused:UNUSED_PAD src0_sel:DWORD src1_sel:WORD_1
	v_fma_f16 v8, v8, v7, v10
	v_fma_f16 v5, v7, v5, -v11
	v_cvt_f32_f16_e32 v7, v8
	v_cvt_f32_f16_e32 v5, v5
	v_cvt_f64_f32_e32 v[10:11], v7
	v_cvt_f64_f32_e32 v[12:13], v5
	v_mul_f64 v[10:11], v[10:11], s[6:7]
	v_mul_f64 v[12:13], v[12:13], s[6:7]
	v_and_or_b32 v5, v11, s17, v10
	v_lshrrev_b32_e32 v7, 8, v11
	v_bfe_u32 v8, v11, 20, 11
	v_and_b32_sdwa v10, v11, s15 dst_sel:DWORD dst_unused:UNUSED_PAD src0_sel:WORD_1 src1_sel:DWORD
	v_and_or_b32 v11, v13, s17, v12
	v_cmp_ne_u32_e32 vcc, 0, v5
	v_lshrrev_b32_e32 v12, 8, v13
	v_bfe_u32 v14, v13, 20, 11
	v_cndmask_b32_e64 v5, 0, 1, vcc
	v_cmp_ne_u32_e32 vcc, 0, v11
	v_sub_u32_e32 v15, 0x3f1, v8
	v_and_or_b32 v5, v7, s16, v5
	v_cndmask_b32_e64 v11, 0, 1, vcc
	v_sub_u32_e32 v17, 0x3f1, v14
	v_med3_i32 v7, v15, 0, 13
	v_and_or_b32 v11, v12, s16, v11
	v_or_b32_e32 v15, 0x1000, v5
	v_add_u32_e32 v8, 0xfffffc10, v8
	v_med3_i32 v12, v17, 0, 13
	v_cmp_ne_u32_e32 vcc, 0, v5
	v_or_b32_e32 v22, 0x1000, v11
	v_lshrrev_b32_e32 v24, v7, v15
	v_add_u32_e32 v14, 0xfffffc10, v14
	v_lshl_or_b32 v17, v8, 12, v5
	v_cndmask_b32_e64 v5, 0, 1, vcc
	v_cmp_ne_u32_e32 vcc, 0, v11
	v_lshrrev_b32_e32 v25, v12, v22
	v_lshlrev_b32_e32 v7, v7, v24
	v_lshl_or_b32 v23, v14, 12, v11
	v_cndmask_b32_e64 v11, 0, 1, vcc
	v_lshlrev_b32_e32 v12, v12, v25
	v_cmp_ne_u32_e32 vcc, v7, v15
	v_lshl_or_b32 v5, v5, 9, v6
	v_lshl_or_b32 v11, v11, 9, v6
	v_cndmask_b32_e64 v7, 0, 1, vcc
	v_cmp_ne_u32_e32 vcc, v12, v22
	v_or_b32_e32 v7, v24, v7
	v_lshrrev_b32_e32 v13, 16, v13
	v_cndmask_b32_e64 v12, 0, 1, vcc
	v_cmp_gt_i32_e32 vcc, 1, v8
	v_or_b32_e32 v12, v25, v12
	s_nop 0
	v_cndmask_b32_e32 v7, v17, v7, vcc
	v_cmp_gt_i32_e32 vcc, 1, v14
	v_and_b32_e32 v15, 7, v7
	v_cmp_eq_u32_e64 s[0:1], 3, v15
	v_cndmask_b32_e32 v12, v23, v12, vcc
	v_cmp_lt_i32_e32 vcc, 5, v15
	v_lshrrev_b32_e32 v7, 2, v7
	v_and_b32_e32 v17, 7, v12
	s_or_b64 vcc, s[0:1], vcc
	v_cmp_lt_i32_e64 s[2:3], 5, v17
	v_cmp_eq_u32_e64 s[4:5], 3, v17
	v_addc_co_u32_e32 v7, vcc, 0, v7, vcc
	v_lshrrev_b32_e32 v12, 2, v12
	s_or_b64 vcc, s[4:5], s[2:3]
	v_addc_co_u32_e32 v12, vcc, 0, v12, vcc
	v_cmp_gt_i32_e32 vcc, 31, v8
	s_nop 1
	v_cndmask_b32_e32 v7, v6, v7, vcc
	v_cmp_gt_i32_e32 vcc, 31, v14
	s_nop 1
	v_cndmask_b32_e32 v12, v6, v12, vcc
	v_cmp_eq_u32_e32 vcc, s14, v8
	s_nop 1
	v_cndmask_b32_e32 v5, v7, v5, vcc
	v_cmp_eq_u32_e32 vcc, s14, v14
	v_bitop3_b32 v5, v10, s19, v5 bitop3:0xc8
	s_nop 0
	v_cndmask_b32_e32 v7, v12, v11, vcc
	v_and_or_b32 v7, v13, s15, v7
	v_lshl_or_b32 v5, v7, 16, v5
	global_store_dword v[2:3], v5, off
	global_load_dword v5, v[20:21], off offset:1392
	v_lshrrev_b32_e32 v7, 16, v9
	v_lshl_add_u64 v[2:3], v[2:3], 0, s[10:11]
	s_waitcnt vmcnt(0)
	v_mul_f16_sdwa v8, v7, v5 dst_sel:DWORD dst_unused:UNUSED_PAD src0_sel:DWORD src1_sel:WORD_1
	v_mul_f16_sdwa v10, v9, v5 dst_sel:DWORD dst_unused:UNUSED_PAD src0_sel:DWORD src1_sel:WORD_1
	v_fma_f16 v8, v9, v5, v8
	v_fma_f16 v5, v5, v7, -v10
	v_cvt_f32_f16_e32 v7, v8
	v_cvt_f32_f16_e32 v5, v5
	v_cvt_f64_f32_e32 v[8:9], v7
	v_cvt_f64_f32_e32 v[10:11], v5
	v_mul_f64 v[8:9], v[8:9], s[6:7]
	v_mul_f64 v[10:11], v[10:11], s[6:7]
	v_and_or_b32 v5, v9, s17, v8
	v_and_or_b32 v10, v11, s17, v10
	v_cmp_ne_u32_e32 vcc, 0, v5
	v_lshrrev_b32_e32 v7, 8, v9
	v_bfe_u32 v8, v9, 20, 11
	v_cndmask_b32_e64 v5, 0, 1, vcc
	v_cmp_ne_u32_e32 vcc, 0, v10
	v_lshrrev_b32_e32 v12, 8, v11
	v_bfe_u32 v13, v11, 20, 11
	v_sub_u32_e32 v14, 0x3f1, v8
	v_cndmask_b32_e64 v10, 0, 1, vcc
	v_and_or_b32 v5, v7, s16, v5
	v_sub_u32_e32 v15, 0x3f1, v13
	v_med3_i32 v7, v14, 0, 13
	v_and_or_b32 v10, v12, s16, v10
	v_or_b32_e32 v14, 0x1000, v5
	v_add_u32_e32 v8, 0xfffffc10, v8
	v_med3_i32 v12, v15, 0, 13
	v_cmp_ne_u32_e32 vcc, 0, v5
	v_or_b32_e32 v17, 0x1000, v10
	v_lshrrev_b32_e32 v23, v7, v14
	v_add_u32_e32 v13, 0xfffffc10, v13
	v_lshl_or_b32 v15, v8, 12, v5
	v_cndmask_b32_e64 v5, 0, 1, vcc
	v_cmp_ne_u32_e32 vcc, 0, v10
	v_lshrrev_b32_e32 v24, v12, v17
	v_lshlrev_b32_e32 v7, v7, v23
	v_lshl_or_b32 v22, v13, 12, v10
	v_cndmask_b32_e64 v10, 0, 1, vcc
	v_lshlrev_b32_e32 v12, v12, v24
	v_cmp_ne_u32_e32 vcc, v7, v14
	v_lshl_or_b32 v5, v5, 9, v6
	v_lshl_or_b32 v10, v10, 9, v6
	v_cndmask_b32_e64 v7, 0, 1, vcc
	v_cmp_ne_u32_e32 vcc, v12, v17
	v_or_b32_e32 v7, v23, v7
	v_and_b32_sdwa v9, v9, s15 dst_sel:DWORD dst_unused:UNUSED_PAD src0_sel:WORD_1 src1_sel:DWORD
	v_cndmask_b32_e64 v12, 0, 1, vcc
	v_cmp_gt_i32_e32 vcc, 1, v8
	v_or_b32_e32 v12, v24, v12
	v_lshrrev_b32_e32 v11, 16, v11
	v_cndmask_b32_e32 v7, v15, v7, vcc
	v_cmp_gt_i32_e32 vcc, 1, v13
	v_and_b32_e32 v14, 7, v7
	v_cmp_eq_u32_e64 s[0:1], 3, v14
	v_cndmask_b32_e32 v12, v22, v12, vcc
	v_cmp_lt_i32_e32 vcc, 5, v14
	v_lshrrev_b32_e32 v7, 2, v7
	v_and_b32_e32 v15, 7, v12
	s_or_b64 vcc, s[0:1], vcc
	v_cmp_lt_i32_e64 s[2:3], 5, v15
	v_cmp_eq_u32_e64 s[4:5], 3, v15
	v_addc_co_u32_e32 v7, vcc, 0, v7, vcc
	v_lshrrev_b32_e32 v12, 2, v12
	s_or_b64 vcc, s[4:5], s[2:3]
	v_addc_co_u32_e32 v12, vcc, 0, v12, vcc
	v_cmp_gt_i32_e32 vcc, 31, v8
	s_nop 1
	v_cndmask_b32_e32 v7, v6, v7, vcc
	v_cmp_gt_i32_e32 vcc, 31, v13
	s_nop 1
	v_cndmask_b32_e32 v12, v6, v12, vcc
	v_cmp_eq_u32_e32 vcc, s14, v8
	s_nop 1
	v_cndmask_b32_e32 v5, v7, v5, vcc
	v_cmp_eq_u32_e32 vcc, s14, v13
	v_bitop3_b32 v5, v9, s19, v5 bitop3:0xc8
	ds_read2_b32 v[8:9], v77 offset0:63 offset1:162
	v_cndmask_b32_e32 v7, v12, v10, vcc
	v_and_or_b32 v7, v11, s15, v7
	v_lshl_or_b32 v5, v7, 16, v5
	global_store_dword v[2:3], v5, off
	global_load_dword v5, v[20:21], off offset:1788
	s_waitcnt lgkmcnt(0)
	v_lshrrev_b32_e32 v7, 16, v8
	v_lshl_add_u64 v[2:3], v[2:3], 0, s[10:11]
	s_waitcnt vmcnt(0)
	v_mul_f16_sdwa v10, v7, v5 dst_sel:DWORD dst_unused:UNUSED_PAD src0_sel:DWORD src1_sel:WORD_1
	v_mul_f16_sdwa v11, v8, v5 dst_sel:DWORD dst_unused:UNUSED_PAD src0_sel:DWORD src1_sel:WORD_1
	v_fma_f16 v8, v8, v5, v10
	v_fma_f16 v5, v5, v7, -v11
	v_cvt_f32_f16_e32 v7, v8
	v_cvt_f32_f16_e32 v5, v5
	v_cvt_f64_f32_e32 v[10:11], v7
	v_cvt_f64_f32_e32 v[12:13], v5
	v_mul_f64 v[10:11], v[10:11], s[6:7]
	v_mul_f64 v[12:13], v[12:13], s[6:7]
	v_and_or_b32 v5, v11, s17, v10
	v_lshrrev_b32_e32 v7, 8, v11
	v_bfe_u32 v8, v11, 20, 11
	v_and_b32_sdwa v10, v11, s15 dst_sel:DWORD dst_unused:UNUSED_PAD src0_sel:WORD_1 src1_sel:DWORD
	v_and_or_b32 v11, v13, s17, v12
	v_cmp_ne_u32_e32 vcc, 0, v5
	v_lshrrev_b32_e32 v12, 8, v13
	v_bfe_u32 v14, v13, 20, 11
	v_cndmask_b32_e64 v5, 0, 1, vcc
	v_cmp_ne_u32_e32 vcc, 0, v11
	v_sub_u32_e32 v15, 0x3f1, v8
	v_and_or_b32 v5, v7, s16, v5
	v_cndmask_b32_e64 v11, 0, 1, vcc
	v_sub_u32_e32 v17, 0x3f1, v14
	v_med3_i32 v7, v15, 0, 13
	v_and_or_b32 v11, v12, s16, v11
	v_or_b32_e32 v15, 0x1000, v5
	v_add_u32_e32 v8, 0xfffffc10, v8
	v_med3_i32 v12, v17, 0, 13
	v_cmp_ne_u32_e32 vcc, 0, v5
	v_or_b32_e32 v22, 0x1000, v11
	v_lshrrev_b32_e32 v24, v7, v15
	v_add_u32_e32 v14, 0xfffffc10, v14
	v_lshl_or_b32 v17, v8, 12, v5
	v_cndmask_b32_e64 v5, 0, 1, vcc
	v_cmp_ne_u32_e32 vcc, 0, v11
	v_lshrrev_b32_e32 v25, v12, v22
	v_lshlrev_b32_e32 v7, v7, v24
	v_lshl_or_b32 v23, v14, 12, v11
	v_cndmask_b32_e64 v11, 0, 1, vcc
	v_lshlrev_b32_e32 v12, v12, v25
	v_cmp_ne_u32_e32 vcc, v7, v15
	v_lshl_or_b32 v5, v5, 9, v6
	v_lshl_or_b32 v11, v11, 9, v6
	v_cndmask_b32_e64 v7, 0, 1, vcc
	v_cmp_ne_u32_e32 vcc, v12, v22
	v_or_b32_e32 v7, v24, v7
	v_lshrrev_b32_e32 v13, 16, v13
	v_cndmask_b32_e64 v12, 0, 1, vcc
	v_cmp_gt_i32_e32 vcc, 1, v8
	v_or_b32_e32 v12, v25, v12
	s_nop 0
	v_cndmask_b32_e32 v7, v17, v7, vcc
	v_cmp_gt_i32_e32 vcc, 1, v14
	v_and_b32_e32 v15, 7, v7
	v_cmp_eq_u32_e64 s[0:1], 3, v15
	v_cndmask_b32_e32 v12, v23, v12, vcc
	v_cmp_lt_i32_e32 vcc, 5, v15
	v_lshrrev_b32_e32 v7, 2, v7
	v_and_b32_e32 v17, 7, v12
	s_or_b64 vcc, s[0:1], vcc
	v_cmp_lt_i32_e64 s[2:3], 5, v17
	v_cmp_eq_u32_e64 s[4:5], 3, v17
	v_addc_co_u32_e32 v7, vcc, 0, v7, vcc
	v_lshrrev_b32_e32 v12, 2, v12
	s_or_b64 vcc, s[4:5], s[2:3]
	v_addc_co_u32_e32 v12, vcc, 0, v12, vcc
	v_cmp_gt_i32_e32 vcc, 31, v8
	s_nop 1
	v_cndmask_b32_e32 v7, v6, v7, vcc
	v_cmp_gt_i32_e32 vcc, 31, v14
	s_nop 1
	v_cndmask_b32_e32 v12, v6, v12, vcc
	v_cmp_eq_u32_e32 vcc, s14, v8
	s_nop 1
	v_cndmask_b32_e32 v5, v7, v5, vcc
	v_cmp_eq_u32_e32 vcc, s14, v14
	v_bitop3_b32 v5, v10, s19, v5 bitop3:0xc8
	s_nop 0
	v_cndmask_b32_e32 v7, v12, v11, vcc
	v_and_or_b32 v7, v13, s15, v7
	v_lshl_or_b32 v5, v7, 16, v5
	global_store_dword v[2:3], v5, off
	global_load_dword v5, v[20:21], off offset:2184
	v_lshrrev_b32_e32 v7, 16, v9
	v_lshl_add_u64 v[2:3], v[2:3], 0, s[10:11]
	s_waitcnt vmcnt(0)
	v_mul_f16_sdwa v8, v7, v5 dst_sel:DWORD dst_unused:UNUSED_PAD src0_sel:DWORD src1_sel:WORD_1
	v_mul_f16_sdwa v10, v9, v5 dst_sel:DWORD dst_unused:UNUSED_PAD src0_sel:DWORD src1_sel:WORD_1
	v_fma_f16 v8, v9, v5, v8
	v_fma_f16 v5, v5, v7, -v10
	v_cvt_f32_f16_e32 v7, v8
	v_cvt_f32_f16_e32 v5, v5
	v_cvt_f64_f32_e32 v[8:9], v7
	v_cvt_f64_f32_e32 v[10:11], v5
	v_mul_f64 v[8:9], v[8:9], s[6:7]
	v_mul_f64 v[10:11], v[10:11], s[6:7]
	v_and_or_b32 v5, v9, s17, v8
	v_and_or_b32 v10, v11, s17, v10
	v_cmp_ne_u32_e32 vcc, 0, v5
	v_lshrrev_b32_e32 v7, 8, v9
	v_bfe_u32 v8, v9, 20, 11
	v_cndmask_b32_e64 v5, 0, 1, vcc
	v_cmp_ne_u32_e32 vcc, 0, v10
	v_lshrrev_b32_e32 v12, 8, v11
	v_bfe_u32 v13, v11, 20, 11
	v_sub_u32_e32 v14, 0x3f1, v8
	v_cndmask_b32_e64 v10, 0, 1, vcc
	v_and_or_b32 v5, v7, s16, v5
	v_sub_u32_e32 v15, 0x3f1, v13
	v_med3_i32 v7, v14, 0, 13
	v_and_or_b32 v10, v12, s16, v10
	v_or_b32_e32 v14, 0x1000, v5
	v_add_u32_e32 v8, 0xfffffc10, v8
	v_med3_i32 v12, v15, 0, 13
	v_cmp_ne_u32_e32 vcc, 0, v5
	v_or_b32_e32 v17, 0x1000, v10
	v_lshrrev_b32_e32 v23, v7, v14
	v_add_u32_e32 v13, 0xfffffc10, v13
	v_lshl_or_b32 v15, v8, 12, v5
	v_cndmask_b32_e64 v5, 0, 1, vcc
	v_cmp_ne_u32_e32 vcc, 0, v10
	v_lshrrev_b32_e32 v24, v12, v17
	v_lshlrev_b32_e32 v7, v7, v23
	v_lshl_or_b32 v22, v13, 12, v10
	v_cndmask_b32_e64 v10, 0, 1, vcc
	v_lshlrev_b32_e32 v12, v12, v24
	v_cmp_ne_u32_e32 vcc, v7, v14
	v_lshl_or_b32 v5, v5, 9, v6
	v_lshl_or_b32 v10, v10, 9, v6
	v_cndmask_b32_e64 v7, 0, 1, vcc
	v_cmp_ne_u32_e32 vcc, v12, v17
	v_or_b32_e32 v7, v23, v7
	v_and_b32_sdwa v9, v9, s15 dst_sel:DWORD dst_unused:UNUSED_PAD src0_sel:WORD_1 src1_sel:DWORD
	v_cndmask_b32_e64 v12, 0, 1, vcc
	v_cmp_gt_i32_e32 vcc, 1, v8
	v_or_b32_e32 v12, v24, v12
	v_lshrrev_b32_e32 v11, 16, v11
	v_cndmask_b32_e32 v7, v15, v7, vcc
	v_cmp_gt_i32_e32 vcc, 1, v13
	v_and_b32_e32 v14, 7, v7
	v_cmp_eq_u32_e64 s[0:1], 3, v14
	v_cndmask_b32_e32 v12, v22, v12, vcc
	v_cmp_lt_i32_e32 vcc, 5, v14
	v_lshrrev_b32_e32 v7, 2, v7
	v_and_b32_e32 v15, 7, v12
	s_or_b64 vcc, s[0:1], vcc
	v_cmp_lt_i32_e64 s[2:3], 5, v15
	v_cmp_eq_u32_e64 s[4:5], 3, v15
	v_addc_co_u32_e32 v7, vcc, 0, v7, vcc
	v_lshrrev_b32_e32 v12, 2, v12
	s_or_b64 vcc, s[4:5], s[2:3]
	v_addc_co_u32_e32 v12, vcc, 0, v12, vcc
	v_cmp_gt_i32_e32 vcc, 31, v8
	s_nop 1
	v_cndmask_b32_e32 v7, v6, v7, vcc
	v_cmp_gt_i32_e32 vcc, 31, v13
	s_nop 1
	v_cndmask_b32_e32 v12, v6, v12, vcc
	v_cmp_eq_u32_e32 vcc, s14, v8
	s_nop 1
	v_cndmask_b32_e32 v5, v7, v5, vcc
	v_cmp_eq_u32_e32 vcc, s14, v13
	v_bitop3_b32 v5, v9, s19, v5 bitop3:0xc8
	ds_read2_b32 v[8:9], v76 offset0:133 offset1:232
	v_cndmask_b32_e32 v7, v12, v10, vcc
	v_and_or_b32 v7, v11, s15, v7
	v_lshl_or_b32 v5, v7, 16, v5
	global_store_dword v[2:3], v5, off
	global_load_dword v5, v[20:21], off offset:2580
	s_waitcnt lgkmcnt(0)
	v_lshrrev_b32_e32 v7, 16, v8
	v_lshl_add_u64 v[2:3], v[2:3], 0, s[10:11]
	s_waitcnt vmcnt(0)
	v_mul_f16_sdwa v10, v7, v5 dst_sel:DWORD dst_unused:UNUSED_PAD src0_sel:DWORD src1_sel:WORD_1
	v_mul_f16_sdwa v11, v8, v5 dst_sel:DWORD dst_unused:UNUSED_PAD src0_sel:DWORD src1_sel:WORD_1
	v_fma_f16 v8, v8, v5, v10
	v_fma_f16 v5, v5, v7, -v11
	v_cvt_f32_f16_e32 v7, v8
	v_cvt_f32_f16_e32 v5, v5
	v_cvt_f64_f32_e32 v[10:11], v7
	v_cvt_f64_f32_e32 v[12:13], v5
	v_mul_f64 v[10:11], v[10:11], s[6:7]
	v_mul_f64 v[12:13], v[12:13], s[6:7]
	v_and_or_b32 v5, v11, s17, v10
	v_lshrrev_b32_e32 v7, 8, v11
	v_bfe_u32 v8, v11, 20, 11
	v_and_b32_sdwa v10, v11, s15 dst_sel:DWORD dst_unused:UNUSED_PAD src0_sel:WORD_1 src1_sel:DWORD
	v_and_or_b32 v11, v13, s17, v12
	v_cmp_ne_u32_e32 vcc, 0, v5
	v_lshrrev_b32_e32 v12, 8, v13
	v_bfe_u32 v14, v13, 20, 11
	v_cndmask_b32_e64 v5, 0, 1, vcc
	v_cmp_ne_u32_e32 vcc, 0, v11
	v_sub_u32_e32 v15, 0x3f1, v8
	v_and_or_b32 v5, v7, s16, v5
	v_cndmask_b32_e64 v11, 0, 1, vcc
	v_sub_u32_e32 v17, 0x3f1, v14
	v_med3_i32 v7, v15, 0, 13
	v_and_or_b32 v11, v12, s16, v11
	v_or_b32_e32 v15, 0x1000, v5
	v_add_u32_e32 v8, 0xfffffc10, v8
	v_med3_i32 v12, v17, 0, 13
	v_cmp_ne_u32_e32 vcc, 0, v5
	v_or_b32_e32 v22, 0x1000, v11
	v_lshrrev_b32_e32 v24, v7, v15
	v_add_u32_e32 v14, 0xfffffc10, v14
	v_lshl_or_b32 v17, v8, 12, v5
	v_cndmask_b32_e64 v5, 0, 1, vcc
	v_cmp_ne_u32_e32 vcc, 0, v11
	v_lshrrev_b32_e32 v25, v12, v22
	v_lshlrev_b32_e32 v7, v7, v24
	v_lshl_or_b32 v23, v14, 12, v11
	v_cndmask_b32_e64 v11, 0, 1, vcc
	v_lshlrev_b32_e32 v12, v12, v25
	v_cmp_ne_u32_e32 vcc, v7, v15
	v_lshl_or_b32 v5, v5, 9, v6
	v_lshl_or_b32 v11, v11, 9, v6
	v_cndmask_b32_e64 v7, 0, 1, vcc
	v_cmp_ne_u32_e32 vcc, v12, v22
	v_or_b32_e32 v7, v24, v7
	v_lshrrev_b32_e32 v13, 16, v13
	v_cndmask_b32_e64 v12, 0, 1, vcc
	v_cmp_gt_i32_e32 vcc, 1, v8
	v_or_b32_e32 v12, v25, v12
	s_nop 0
	v_cndmask_b32_e32 v7, v17, v7, vcc
	v_cmp_gt_i32_e32 vcc, 1, v14
	v_and_b32_e32 v15, 7, v7
	v_cmp_eq_u32_e64 s[0:1], 3, v15
	v_cndmask_b32_e32 v12, v23, v12, vcc
	v_cmp_lt_i32_e32 vcc, 5, v15
	v_lshrrev_b32_e32 v7, 2, v7
	v_and_b32_e32 v17, 7, v12
	s_or_b64 vcc, s[0:1], vcc
	v_cmp_lt_i32_e64 s[2:3], 5, v17
	v_cmp_eq_u32_e64 s[4:5], 3, v17
	v_addc_co_u32_e32 v7, vcc, 0, v7, vcc
	v_lshrrev_b32_e32 v12, 2, v12
	s_or_b64 vcc, s[4:5], s[2:3]
	v_addc_co_u32_e32 v12, vcc, 0, v12, vcc
	v_cmp_gt_i32_e32 vcc, 31, v8
	s_nop 1
	v_cndmask_b32_e32 v7, v6, v7, vcc
	v_cmp_gt_i32_e32 vcc, 31, v14
	s_nop 1
	v_cndmask_b32_e32 v12, v6, v12, vcc
	v_cmp_eq_u32_e32 vcc, s14, v8
	s_nop 1
	v_cndmask_b32_e32 v5, v7, v5, vcc
	v_cmp_eq_u32_e32 vcc, s14, v14
	v_bitop3_b32 v5, v10, s19, v5 bitop3:0xc8
	s_nop 0
	v_cndmask_b32_e32 v7, v12, v11, vcc
	v_and_or_b32 v7, v13, s15, v7
	v_lshl_or_b32 v5, v7, 16, v5
	global_store_dword v[2:3], v5, off
	global_load_dword v5, v[20:21], off offset:2976
	v_lshrrev_b32_e32 v7, 16, v9
	v_lshl_add_u64 v[2:3], v[2:3], 0, s[10:11]
	s_waitcnt vmcnt(0)
	v_mul_f16_sdwa v8, v7, v5 dst_sel:DWORD dst_unused:UNUSED_PAD src0_sel:DWORD src1_sel:WORD_1
	v_mul_f16_sdwa v10, v9, v5 dst_sel:DWORD dst_unused:UNUSED_PAD src0_sel:DWORD src1_sel:WORD_1
	v_fma_f16 v8, v9, v5, v8
	v_fma_f16 v5, v5, v7, -v10
	v_cvt_f32_f16_e32 v7, v8
	v_cvt_f32_f16_e32 v5, v5
	v_cvt_f64_f32_e32 v[8:9], v7
	v_cvt_f64_f32_e32 v[10:11], v5
	v_mul_f64 v[8:9], v[8:9], s[6:7]
	v_mul_f64 v[10:11], v[10:11], s[6:7]
	v_and_or_b32 v5, v9, s17, v8
	v_and_or_b32 v10, v11, s17, v10
	v_cmp_ne_u32_e32 vcc, 0, v5
	v_lshrrev_b32_e32 v7, 8, v9
	v_bfe_u32 v8, v9, 20, 11
	v_cndmask_b32_e64 v5, 0, 1, vcc
	v_cmp_ne_u32_e32 vcc, 0, v10
	v_lshrrev_b32_e32 v12, 8, v11
	v_bfe_u32 v13, v11, 20, 11
	v_sub_u32_e32 v14, 0x3f1, v8
	v_cndmask_b32_e64 v10, 0, 1, vcc
	v_and_or_b32 v5, v7, s16, v5
	v_sub_u32_e32 v15, 0x3f1, v13
	v_med3_i32 v7, v14, 0, 13
	v_and_or_b32 v10, v12, s16, v10
	v_or_b32_e32 v14, 0x1000, v5
	v_add_u32_e32 v8, 0xfffffc10, v8
	v_med3_i32 v12, v15, 0, 13
	v_cmp_ne_u32_e32 vcc, 0, v5
	v_or_b32_e32 v17, 0x1000, v10
	v_lshrrev_b32_e32 v23, v7, v14
	v_add_u32_e32 v13, 0xfffffc10, v13
	v_lshl_or_b32 v15, v8, 12, v5
	v_cndmask_b32_e64 v5, 0, 1, vcc
	v_cmp_ne_u32_e32 vcc, 0, v10
	v_lshrrev_b32_e32 v24, v12, v17
	v_lshlrev_b32_e32 v7, v7, v23
	v_lshl_or_b32 v22, v13, 12, v10
	v_cndmask_b32_e64 v10, 0, 1, vcc
	v_lshlrev_b32_e32 v12, v12, v24
	v_cmp_ne_u32_e32 vcc, v7, v14
	v_lshl_or_b32 v5, v5, 9, v6
	v_lshl_or_b32 v10, v10, 9, v6
	v_cndmask_b32_e64 v7, 0, 1, vcc
	v_cmp_ne_u32_e32 vcc, v12, v17
	v_or_b32_e32 v7, v23, v7
	v_and_b32_sdwa v9, v9, s15 dst_sel:DWORD dst_unused:UNUSED_PAD src0_sel:WORD_1 src1_sel:DWORD
	v_cndmask_b32_e64 v12, 0, 1, vcc
	v_cmp_gt_i32_e32 vcc, 1, v8
	v_or_b32_e32 v12, v24, v12
	v_lshrrev_b32_e32 v11, 16, v11
	v_cndmask_b32_e32 v7, v15, v7, vcc
	v_cmp_gt_i32_e32 vcc, 1, v13
	v_and_b32_e32 v14, 7, v7
	v_cmp_eq_u32_e64 s[0:1], 3, v14
	v_cndmask_b32_e32 v12, v22, v12, vcc
	v_cmp_lt_i32_e32 vcc, 5, v14
	v_lshrrev_b32_e32 v7, 2, v7
	v_and_b32_e32 v15, 7, v12
	s_or_b64 vcc, s[0:1], vcc
	v_cmp_lt_i32_e64 s[2:3], 5, v15
	v_cmp_eq_u32_e64 s[4:5], 3, v15
	v_addc_co_u32_e32 v7, vcc, 0, v7, vcc
	v_lshrrev_b32_e32 v12, 2, v12
	s_or_b64 vcc, s[4:5], s[2:3]
	v_addc_co_u32_e32 v12, vcc, 0, v12, vcc
	v_cmp_gt_i32_e32 vcc, 31, v8
	s_nop 1
	v_cndmask_b32_e32 v7, v6, v7, vcc
	v_cmp_gt_i32_e32 vcc, 31, v13
	s_nop 1
	v_cndmask_b32_e32 v12, v6, v12, vcc
	v_cmp_eq_u32_e32 vcc, s14, v8
	s_nop 1
	v_cndmask_b32_e32 v5, v7, v5, vcc
	v_cmp_eq_u32_e32 vcc, s14, v13
	v_bitop3_b32 v5, v9, s19, v5 bitop3:0xc8
	ds_read2_b32 v[8:9], v75 offset0:75 offset1:174
	v_cndmask_b32_e32 v7, v12, v10, vcc
	v_and_or_b32 v7, v11, s15, v7
	v_lshl_or_b32 v5, v7, 16, v5
	global_store_dword v[2:3], v5, off
	global_load_dword v5, v[20:21], off offset:3372
	s_waitcnt lgkmcnt(0)
	v_lshrrev_b32_e32 v7, 16, v8
	s_waitcnt vmcnt(0)
	v_mul_f16_sdwa v10, v7, v5 dst_sel:DWORD dst_unused:UNUSED_PAD src0_sel:DWORD src1_sel:WORD_1
	v_mul_f16_sdwa v11, v8, v5 dst_sel:DWORD dst_unused:UNUSED_PAD src0_sel:DWORD src1_sel:WORD_1
	v_fma_f16 v8, v8, v5, v10
	v_fma_f16 v5, v5, v7, -v11
	v_cvt_f32_f16_e32 v7, v8
	v_cvt_f32_f16_e32 v5, v5
	v_lshl_add_u64 v[10:11], v[2:3], 0, s[10:11]
	v_cvt_f64_f32_e32 v[2:3], v7
	v_cvt_f64_f32_e32 v[12:13], v5
	v_mul_f64 v[2:3], v[2:3], s[6:7]
	v_mul_f64 v[12:13], v[12:13], s[6:7]
	v_and_or_b32 v2, v3, s17, v2
	v_and_or_b32 v8, v13, s17, v12
	v_cmp_ne_u32_e32 vcc, 0, v2
	v_lshrrev_b32_e32 v5, 8, v3
	v_bfe_u32 v7, v3, 20, 11
	v_cndmask_b32_e64 v2, 0, 1, vcc
	v_cmp_ne_u32_e32 vcc, 0, v8
	v_lshrrev_b32_e32 v12, 8, v13
	v_bfe_u32 v14, v13, 20, 11
	v_sub_u32_e32 v15, 0x3f1, v7
	v_cndmask_b32_e64 v8, 0, 1, vcc
	v_and_or_b32 v2, v5, s16, v2
	v_sub_u32_e32 v17, 0x3f1, v14
	v_med3_i32 v5, v15, 0, 13
	v_and_or_b32 v8, v12, s16, v8
	v_or_b32_e32 v15, 0x1000, v2
	v_add_u32_e32 v7, 0xfffffc10, v7
	v_med3_i32 v12, v17, 0, 13
	v_cmp_ne_u32_e32 vcc, 0, v2
	v_or_b32_e32 v22, 0x1000, v8
	v_lshrrev_b32_e32 v24, v5, v15
	v_add_u32_e32 v14, 0xfffffc10, v14
	v_lshl_or_b32 v17, v7, 12, v2
	v_cndmask_b32_e64 v2, 0, 1, vcc
	v_cmp_ne_u32_e32 vcc, 0, v8
	v_lshrrev_b32_e32 v25, v12, v22
	v_lshlrev_b32_e32 v5, v5, v24
	v_lshl_or_b32 v23, v14, 12, v8
	v_cndmask_b32_e64 v8, 0, 1, vcc
	v_lshlrev_b32_e32 v12, v12, v25
	v_cmp_ne_u32_e32 vcc, v5, v15
	v_lshl_or_b32 v2, v2, 9, v6
	v_lshl_or_b32 v8, v8, 9, v6
	v_cndmask_b32_e64 v5, 0, 1, vcc
	v_cmp_ne_u32_e32 vcc, v12, v22
	v_or_b32_e32 v5, v24, v5
	v_and_b32_sdwa v3, v3, s15 dst_sel:DWORD dst_unused:UNUSED_PAD src0_sel:WORD_1 src1_sel:DWORD
	v_cndmask_b32_e64 v12, 0, 1, vcc
	v_cmp_gt_i32_e32 vcc, 1, v7
	v_or_b32_e32 v12, v25, v12
	v_lshrrev_b32_e32 v13, 16, v13
	v_cndmask_b32_e32 v5, v17, v5, vcc
	v_cmp_gt_i32_e32 vcc, 1, v14
	v_and_b32_e32 v15, 7, v5
	v_cmp_eq_u32_e64 s[0:1], 3, v15
	v_cndmask_b32_e32 v12, v23, v12, vcc
	v_cmp_lt_i32_e32 vcc, 5, v15
	v_lshrrev_b32_e32 v5, 2, v5
	v_and_b32_e32 v17, 7, v12
	s_or_b64 vcc, s[0:1], vcc
	v_cmp_lt_i32_e64 s[2:3], 5, v17
	v_cmp_eq_u32_e64 s[4:5], 3, v17
	v_addc_co_u32_e32 v5, vcc, 0, v5, vcc
	v_lshrrev_b32_e32 v12, 2, v12
	s_or_b64 vcc, s[4:5], s[2:3]
	v_addc_co_u32_e32 v12, vcc, 0, v12, vcc
	v_cmp_gt_i32_e32 vcc, 31, v7
	s_nop 1
	v_cndmask_b32_e32 v5, v6, v5, vcc
	v_cmp_gt_i32_e32 vcc, 31, v14
	s_nop 1
	v_cndmask_b32_e32 v12, v6, v12, vcc
	v_cmp_eq_u32_e32 vcc, s14, v7
	s_nop 1
	v_cndmask_b32_e32 v2, v5, v2, vcc
	v_cmp_eq_u32_e32 vcc, s14, v14
	v_bitop3_b32 v2, v3, s19, v2 bitop3:0xc8
	v_lshrrev_b32_e32 v3, 16, v9
	v_cndmask_b32_e32 v5, v12, v8, vcc
	v_and_or_b32 v5, v13, s15, v5
	v_lshl_or_b32 v2, v5, 16, v2
	global_store_dword v[10:11], v2, off
	global_load_dword v2, v[20:21], off offset:3768
	s_waitcnt vmcnt(0)
	v_mul_f16_sdwa v5, v3, v2 dst_sel:DWORD dst_unused:UNUSED_PAD src0_sel:DWORD src1_sel:WORD_1
	v_mul_f16_sdwa v7, v9, v2 dst_sel:DWORD dst_unused:UNUSED_PAD src0_sel:DWORD src1_sel:WORD_1
	v_fma_f16 v5, v9, v2, v5
	v_fma_f16 v2, v2, v3, -v7
	v_cvt_f32_f16_e32 v5, v5
	v_cvt_f32_f16_e32 v7, v2
	v_lshl_add_u64 v[8:9], v[10:11], 0, s[10:11]
	v_add_co_u32_e32 v2, vcc, s18, v20
	v_cvt_f64_f32_e32 v[10:11], v5
	v_cvt_f64_f32_e32 v[12:13], v7
	v_mul_f64 v[10:11], v[10:11], s[6:7]
	v_addc_co_u32_e32 v3, vcc, 0, v21, vcc
	v_mul_f64 v[12:13], v[12:13], s[6:7]
	v_and_or_b32 v5, v11, s17, v10
	v_and_or_b32 v12, v13, s17, v12
	v_cmp_ne_u32_e32 vcc, 0, v5
	v_lshrrev_b32_e32 v7, 8, v11
	v_bfe_u32 v10, v11, 20, 11
	v_cndmask_b32_e64 v5, 0, 1, vcc
	v_cmp_ne_u32_e32 vcc, 0, v12
	v_lshrrev_b32_e32 v14, 8, v13
	v_bfe_u32 v15, v13, 20, 11
	v_sub_u32_e32 v17, 0x3f1, v10
	v_cndmask_b32_e64 v12, 0, 1, vcc
	v_and_or_b32 v5, v7, s16, v5
	v_sub_u32_e32 v20, 0x3f1, v15
	v_med3_i32 v7, v17, 0, 13
	v_and_or_b32 v12, v14, s16, v12
	v_or_b32_e32 v17, 0x1000, v5
	v_add_u32_e32 v10, 0xfffffc10, v10
	v_med3_i32 v14, v20, 0, 13
	v_cmp_ne_u32_e32 vcc, 0, v5
	v_or_b32_e32 v21, 0x1000, v12
	v_lshrrev_b32_e32 v23, v7, v17
	v_add_u32_e32 v15, 0xfffffc10, v15
	v_lshl_or_b32 v20, v10, 12, v5
	v_cndmask_b32_e64 v5, 0, 1, vcc
	v_cmp_ne_u32_e32 vcc, 0, v12
	v_lshrrev_b32_e32 v24, v14, v21
	v_lshlrev_b32_e32 v7, v7, v23
	v_lshl_or_b32 v22, v15, 12, v12
	v_cndmask_b32_e64 v12, 0, 1, vcc
	v_lshlrev_b32_e32 v14, v14, v24
	v_cmp_ne_u32_e32 vcc, v7, v17
	v_lshl_or_b32 v5, v5, 9, v6
	v_lshl_or_b32 v12, v12, 9, v6
	v_cndmask_b32_e64 v7, 0, 1, vcc
	v_cmp_ne_u32_e32 vcc, v14, v21
	v_or_b32_e32 v7, v23, v7
	v_and_b32_sdwa v11, v11, s15 dst_sel:DWORD dst_unused:UNUSED_PAD src0_sel:WORD_1 src1_sel:DWORD
	v_cndmask_b32_e64 v14, 0, 1, vcc
	v_cmp_gt_i32_e32 vcc, 1, v10
	v_or_b32_e32 v14, v24, v14
	v_lshrrev_b32_e32 v13, 16, v13
	v_cndmask_b32_e32 v7, v20, v7, vcc
	v_cmp_gt_i32_e32 vcc, 1, v15
	v_and_b32_e32 v17, 7, v7
	v_cmp_eq_u32_e64 s[0:1], 3, v17
	v_cndmask_b32_e32 v14, v22, v14, vcc
	v_cmp_lt_i32_e32 vcc, 5, v17
	v_lshrrev_b32_e32 v7, 2, v7
	v_and_b32_e32 v20, 7, v14
	s_or_b64 vcc, s[0:1], vcc
	v_cmp_lt_i32_e64 s[2:3], 5, v20
	v_cmp_eq_u32_e64 s[4:5], 3, v20
	v_addc_co_u32_e32 v7, vcc, 0, v7, vcc
	v_lshrrev_b32_e32 v14, 2, v14
	s_or_b64 vcc, s[4:5], s[2:3]
	v_addc_co_u32_e32 v14, vcc, 0, v14, vcc
	v_cmp_gt_i32_e32 vcc, 31, v10
	s_nop 1
	v_cndmask_b32_e32 v7, v6, v7, vcc
	v_cmp_gt_i32_e32 vcc, 31, v15
	s_nop 1
	v_cndmask_b32_e32 v14, v6, v14, vcc
	v_cmp_eq_u32_e32 vcc, s14, v10
	s_nop 1
	v_cndmask_b32_e32 v5, v7, v5, vcc
	v_cmp_eq_u32_e32 vcc, s14, v15
	v_bitop3_b32 v5, v11, s19, v5 bitop3:0xc8
	ds_read2_b32 v[10:11], v74 offset0:17 offset1:116
	v_cndmask_b32_e32 v7, v14, v12, vcc
	v_and_or_b32 v7, v13, s15, v7
	v_lshl_or_b32 v5, v7, 16, v5
	global_store_dword v[8:9], v5, off
	global_load_dword v5, v[2:3], off offset:68
	s_waitcnt lgkmcnt(0)
	v_lshrrev_b32_e32 v7, 16, v10
	v_lshl_add_u64 v[8:9], v[8:9], 0, s[10:11]
	s_waitcnt vmcnt(0)
	v_mul_f16_sdwa v12, v7, v5 dst_sel:DWORD dst_unused:UNUSED_PAD src0_sel:DWORD src1_sel:WORD_1
	v_mul_f16_sdwa v13, v10, v5 dst_sel:DWORD dst_unused:UNUSED_PAD src0_sel:DWORD src1_sel:WORD_1
	v_fma_f16 v10, v10, v5, v12
	v_fma_f16 v5, v5, v7, -v13
	v_cvt_f32_f16_e32 v7, v10
	v_cvt_f32_f16_e32 v5, v5
	v_cvt_f64_f32_e32 v[12:13], v7
	v_cvt_f64_f32_e32 v[14:15], v5
	v_mul_f64 v[12:13], v[12:13], s[6:7]
	v_mul_f64 v[14:15], v[14:15], s[6:7]
	v_and_or_b32 v5, v13, s17, v12
	v_lshrrev_b32_e32 v7, 8, v13
	v_bfe_u32 v10, v13, 20, 11
	v_and_b32_sdwa v12, v13, s15 dst_sel:DWORD dst_unused:UNUSED_PAD src0_sel:WORD_1 src1_sel:DWORD
	v_and_or_b32 v13, v15, s17, v14
	v_cmp_ne_u32_e32 vcc, 0, v5
	v_lshrrev_b32_e32 v14, 8, v15
	v_bfe_u32 v17, v15, 20, 11
	v_cndmask_b32_e64 v5, 0, 1, vcc
	v_cmp_ne_u32_e32 vcc, 0, v13
	v_sub_u32_e32 v20, 0x3f1, v10
	v_and_or_b32 v5, v7, s16, v5
	v_cndmask_b32_e64 v13, 0, 1, vcc
	v_sub_u32_e32 v21, 0x3f1, v17
	v_med3_i32 v7, v20, 0, 13
	v_and_or_b32 v13, v14, s16, v13
	v_or_b32_e32 v20, 0x1000, v5
	v_add_u32_e32 v10, 0xfffffc10, v10
	v_med3_i32 v14, v21, 0, 13
	v_cmp_ne_u32_e32 vcc, 0, v5
	v_or_b32_e32 v22, 0x1000, v13
	v_lshrrev_b32_e32 v24, v7, v20
	v_add_u32_e32 v17, 0xfffffc10, v17
	v_lshl_or_b32 v21, v10, 12, v5
	v_cndmask_b32_e64 v5, 0, 1, vcc
	v_cmp_ne_u32_e32 vcc, 0, v13
	v_lshrrev_b32_e32 v25, v14, v22
	v_lshlrev_b32_e32 v7, v7, v24
	v_lshl_or_b32 v23, v17, 12, v13
	v_cndmask_b32_e64 v13, 0, 1, vcc
	v_lshlrev_b32_e32 v14, v14, v25
	v_cmp_ne_u32_e32 vcc, v7, v20
	v_lshl_or_b32 v5, v5, 9, v6
	v_lshl_or_b32 v13, v13, 9, v6
	v_cndmask_b32_e64 v7, 0, 1, vcc
	v_cmp_ne_u32_e32 vcc, v14, v22
	v_or_b32_e32 v7, v24, v7
	v_lshrrev_b32_e32 v15, 16, v15
	v_cndmask_b32_e64 v14, 0, 1, vcc
	v_cmp_gt_i32_e32 vcc, 1, v10
	v_or_b32_e32 v14, v25, v14
	s_nop 0
	v_cndmask_b32_e32 v7, v21, v7, vcc
	v_cmp_gt_i32_e32 vcc, 1, v17
	v_and_b32_e32 v20, 7, v7
	v_cmp_eq_u32_e64 s[0:1], 3, v20
	v_cndmask_b32_e32 v14, v23, v14, vcc
	v_cmp_lt_i32_e32 vcc, 5, v20
	v_lshrrev_b32_e32 v7, 2, v7
	v_and_b32_e32 v21, 7, v14
	s_or_b64 vcc, s[0:1], vcc
	v_cmp_lt_i32_e64 s[2:3], 5, v21
	v_cmp_eq_u32_e64 s[4:5], 3, v21
	v_addc_co_u32_e32 v7, vcc, 0, v7, vcc
	v_lshrrev_b32_e32 v14, 2, v14
	s_or_b64 vcc, s[4:5], s[2:3]
	v_addc_co_u32_e32 v14, vcc, 0, v14, vcc
	v_cmp_gt_i32_e32 vcc, 31, v10
	s_nop 1
	v_cndmask_b32_e32 v7, v6, v7, vcc
	v_cmp_gt_i32_e32 vcc, 31, v17
	s_nop 1
	v_cndmask_b32_e32 v14, v6, v14, vcc
	v_cmp_eq_u32_e32 vcc, s14, v10
	s_nop 1
	v_cndmask_b32_e32 v5, v7, v5, vcc
	v_cmp_eq_u32_e32 vcc, s14, v17
	v_bitop3_b32 v5, v12, s19, v5 bitop3:0xc8
	s_nop 0
	v_cndmask_b32_e32 v7, v14, v13, vcc
	v_and_or_b32 v7, v15, s15, v7
	v_lshl_or_b32 v5, v7, 16, v5
	global_store_dword v[8:9], v5, off
	global_load_dword v5, v[2:3], off offset:464
	v_lshrrev_b32_e32 v7, 16, v11
	v_lshl_add_u64 v[8:9], v[8:9], 0, s[10:11]
	s_waitcnt vmcnt(0)
	v_mul_f16_sdwa v10, v7, v5 dst_sel:DWORD dst_unused:UNUSED_PAD src0_sel:DWORD src1_sel:WORD_1
	v_mul_f16_sdwa v12, v11, v5 dst_sel:DWORD dst_unused:UNUSED_PAD src0_sel:DWORD src1_sel:WORD_1
	v_fma_f16 v10, v11, v5, v10
	v_fma_f16 v5, v5, v7, -v12
	v_cvt_f32_f16_e32 v7, v10
	v_cvt_f32_f16_e32 v5, v5
	v_cvt_f64_f32_e32 v[10:11], v7
	v_cvt_f64_f32_e32 v[12:13], v5
	v_mul_f64 v[10:11], v[10:11], s[6:7]
	v_mul_f64 v[12:13], v[12:13], s[6:7]
	v_and_or_b32 v5, v11, s17, v10
	v_and_or_b32 v12, v13, s17, v12
	v_cmp_ne_u32_e32 vcc, 0, v5
	v_lshrrev_b32_e32 v7, 8, v11
	v_bfe_u32 v10, v11, 20, 11
	v_cndmask_b32_e64 v5, 0, 1, vcc
	v_cmp_ne_u32_e32 vcc, 0, v12
	v_lshrrev_b32_e32 v14, 8, v13
	v_bfe_u32 v15, v13, 20, 11
	v_sub_u32_e32 v17, 0x3f1, v10
	v_cndmask_b32_e64 v12, 0, 1, vcc
	v_and_or_b32 v5, v7, s16, v5
	v_sub_u32_e32 v20, 0x3f1, v15
	v_med3_i32 v7, v17, 0, 13
	v_and_or_b32 v12, v14, s16, v12
	v_or_b32_e32 v17, 0x1000, v5
	v_add_u32_e32 v10, 0xfffffc10, v10
	v_med3_i32 v14, v20, 0, 13
	v_cmp_ne_u32_e32 vcc, 0, v5
	v_or_b32_e32 v21, 0x1000, v12
	v_lshrrev_b32_e32 v23, v7, v17
	v_add_u32_e32 v15, 0xfffffc10, v15
	v_lshl_or_b32 v20, v10, 12, v5
	v_cndmask_b32_e64 v5, 0, 1, vcc
	v_cmp_ne_u32_e32 vcc, 0, v12
	v_lshrrev_b32_e32 v24, v14, v21
	v_lshlrev_b32_e32 v7, v7, v23
	v_lshl_or_b32 v22, v15, 12, v12
	v_cndmask_b32_e64 v12, 0, 1, vcc
	v_lshlrev_b32_e32 v14, v14, v24
	v_cmp_ne_u32_e32 vcc, v7, v17
	v_lshl_or_b32 v5, v5, 9, v6
	v_lshl_or_b32 v12, v12, 9, v6
	v_cndmask_b32_e64 v7, 0, 1, vcc
	v_cmp_ne_u32_e32 vcc, v14, v21
	v_or_b32_e32 v7, v23, v7
	v_and_b32_sdwa v11, v11, s15 dst_sel:DWORD dst_unused:UNUSED_PAD src0_sel:WORD_1 src1_sel:DWORD
	v_cndmask_b32_e64 v14, 0, 1, vcc
	v_cmp_gt_i32_e32 vcc, 1, v10
	v_or_b32_e32 v14, v24, v14
	v_lshrrev_b32_e32 v13, 16, v13
	v_cndmask_b32_e32 v7, v20, v7, vcc
	v_cmp_gt_i32_e32 vcc, 1, v15
	v_and_b32_e32 v17, 7, v7
	v_cmp_eq_u32_e64 s[0:1], 3, v17
	v_cndmask_b32_e32 v14, v22, v14, vcc
	v_cmp_lt_i32_e32 vcc, 5, v17
	v_lshrrev_b32_e32 v7, 2, v7
	v_and_b32_e32 v20, 7, v14
	s_or_b64 vcc, s[0:1], vcc
	v_cmp_lt_i32_e64 s[2:3], 5, v20
	v_cmp_eq_u32_e64 s[4:5], 3, v20
	v_addc_co_u32_e32 v7, vcc, 0, v7, vcc
	v_lshrrev_b32_e32 v14, 2, v14
	s_or_b64 vcc, s[4:5], s[2:3]
	v_addc_co_u32_e32 v14, vcc, 0, v14, vcc
	v_cmp_gt_i32_e32 vcc, 31, v10
	s_nop 1
	v_cndmask_b32_e32 v7, v6, v7, vcc
	v_cmp_gt_i32_e32 vcc, 31, v15
	s_nop 1
	v_cndmask_b32_e32 v14, v6, v14, vcc
	v_cmp_eq_u32_e32 vcc, s14, v10
	s_nop 1
	v_cndmask_b32_e32 v5, v7, v5, vcc
	v_cmp_eq_u32_e32 vcc, s14, v15
	v_bitop3_b32 v5, v11, s19, v5 bitop3:0xc8
	s_nop 0
	v_cndmask_b32_e32 v7, v14, v12, vcc
	v_and_or_b32 v7, v13, s15, v7
	v_lshl_or_b32 v5, v7, 16, v5
	global_store_dword v[8:9], v5, off
	global_load_dword v7, v[2:3], off offset:860
	ds_read2_b32 v[4:5], v4 offset0:87 offset1:186
	v_lshl_add_u64 v[8:9], v[8:9], 0, s[10:11]
	s_waitcnt lgkmcnt(0)
	v_lshrrev_b32_e32 v10, 16, v4
	s_waitcnt vmcnt(0)
	v_mul_f16_sdwa v11, v10, v7 dst_sel:DWORD dst_unused:UNUSED_PAD src0_sel:DWORD src1_sel:WORD_1
	v_mul_f16_sdwa v12, v4, v7 dst_sel:DWORD dst_unused:UNUSED_PAD src0_sel:DWORD src1_sel:WORD_1
	v_fma_f16 v4, v4, v7, v11
	v_fma_f16 v7, v7, v10, -v12
	v_cvt_f32_f16_e32 v4, v4
	v_cvt_f32_f16_e32 v7, v7
	v_cvt_f64_f32_e32 v[10:11], v4
	v_cvt_f64_f32_e32 v[12:13], v7
	v_mul_f64 v[10:11], v[10:11], s[6:7]
	v_mul_f64 v[12:13], v[12:13], s[6:7]
	v_and_or_b32 v4, v11, s17, v10
	v_and_or_b32 v12, v13, s17, v12
	v_cmp_ne_u32_e32 vcc, 0, v4
	v_lshrrev_b32_e32 v7, 8, v11
	v_bfe_u32 v10, v11, 20, 11
	v_cndmask_b32_e64 v4, 0, 1, vcc
	v_cmp_ne_u32_e32 vcc, 0, v12
	v_lshrrev_b32_e32 v14, 8, v13
	v_bfe_u32 v15, v13, 20, 11
	v_sub_u32_e32 v17, 0x3f1, v10
	v_cndmask_b32_e64 v12, 0, 1, vcc
	v_and_or_b32 v4, v7, s16, v4
	v_sub_u32_e32 v20, 0x3f1, v15
	v_med3_i32 v7, v17, 0, 13
	v_and_or_b32 v12, v14, s16, v12
	v_or_b32_e32 v17, 0x1000, v4
	v_add_u32_e32 v10, 0xfffffc10, v10
	v_med3_i32 v14, v20, 0, 13
	v_cmp_ne_u32_e32 vcc, 0, v4
	v_or_b32_e32 v21, 0x1000, v12
	v_lshrrev_b32_e32 v23, v7, v17
	v_add_u32_e32 v15, 0xfffffc10, v15
	v_lshl_or_b32 v20, v10, 12, v4
	v_cndmask_b32_e64 v4, 0, 1, vcc
	v_cmp_ne_u32_e32 vcc, 0, v12
	v_lshrrev_b32_e32 v24, v14, v21
	v_lshlrev_b32_e32 v7, v7, v23
	v_lshl_or_b32 v22, v15, 12, v12
	v_cndmask_b32_e64 v12, 0, 1, vcc
	v_lshlrev_b32_e32 v14, v14, v24
	v_cmp_ne_u32_e32 vcc, v7, v17
	v_lshl_or_b32 v4, v4, 9, v6
	v_lshl_or_b32 v12, v12, 9, v6
	v_cndmask_b32_e64 v7, 0, 1, vcc
	v_cmp_ne_u32_e32 vcc, v14, v21
	v_or_b32_e32 v7, v23, v7
	v_and_b32_sdwa v11, v11, s15 dst_sel:DWORD dst_unused:UNUSED_PAD src0_sel:WORD_1 src1_sel:DWORD
	v_cndmask_b32_e64 v14, 0, 1, vcc
	v_cmp_gt_i32_e32 vcc, 1, v10
	v_or_b32_e32 v14, v24, v14
	v_lshrrev_b32_e32 v13, 16, v13
	v_cndmask_b32_e32 v7, v20, v7, vcc
	v_cmp_gt_i32_e32 vcc, 1, v15
	v_and_b32_e32 v17, 7, v7
	v_cmp_eq_u32_e64 s[0:1], 3, v17
	v_cndmask_b32_e32 v14, v22, v14, vcc
	v_cmp_lt_i32_e32 vcc, 5, v17
	v_lshrrev_b32_e32 v7, 2, v7
	v_and_b32_e32 v20, 7, v14
	s_or_b64 vcc, s[0:1], vcc
	v_cmp_lt_i32_e64 s[2:3], 5, v20
	v_cmp_eq_u32_e64 s[4:5], 3, v20
	v_addc_co_u32_e32 v7, vcc, 0, v7, vcc
	v_lshrrev_b32_e32 v14, 2, v14
	s_or_b64 vcc, s[4:5], s[2:3]
	v_addc_co_u32_e32 v14, vcc, 0, v14, vcc
	v_cmp_gt_i32_e32 vcc, 31, v10
	s_nop 1
	v_cndmask_b32_e32 v7, v6, v7, vcc
	v_cmp_gt_i32_e32 vcc, 31, v15
	s_nop 1
	v_cndmask_b32_e32 v14, v6, v14, vcc
	v_cmp_eq_u32_e32 vcc, s14, v10
	s_nop 1
	v_cndmask_b32_e32 v4, v7, v4, vcc
	v_cmp_eq_u32_e32 vcc, s14, v15
	v_bitop3_b32 v4, v11, s19, v4 bitop3:0xc8
	s_nop 0
	v_cndmask_b32_e32 v7, v14, v12, vcc
	v_and_or_b32 v7, v13, s15, v7
	v_lshl_or_b32 v4, v7, 16, v4
	global_store_dword v[8:9], v4, off
	global_load_dword v4, v[2:3], off offset:1256
	v_lshrrev_b32_e32 v7, 16, v5
	s_waitcnt vmcnt(0)
	v_mul_f16_sdwa v10, v7, v4 dst_sel:DWORD dst_unused:UNUSED_PAD src0_sel:DWORD src1_sel:WORD_1
	v_mul_f16_sdwa v11, v5, v4 dst_sel:DWORD dst_unused:UNUSED_PAD src0_sel:DWORD src1_sel:WORD_1
	v_fma_f16 v5, v5, v4, v10
	v_fma_f16 v4, v4, v7, -v11
	v_cvt_f32_f16_e32 v7, v5
	v_cvt_f32_f16_e32 v10, v4
	v_lshl_add_u64 v[4:5], v[8:9], 0, s[10:11]
	v_cvt_f64_f32_e32 v[8:9], v7
	v_cvt_f64_f32_e32 v[10:11], v10
	v_mul_f64 v[8:9], v[8:9], s[6:7]
	v_mul_f64 v[10:11], v[10:11], s[6:7]
	v_and_or_b32 v7, v9, s17, v8
	v_and_or_b32 v10, v11, s17, v10
	v_cmp_ne_u32_e32 vcc, 0, v7
	v_lshrrev_b32_e32 v8, 8, v9
	v_bfe_u32 v12, v9, 20, 11
	v_cndmask_b32_e64 v7, 0, 1, vcc
	v_cmp_ne_u32_e32 vcc, 0, v10
	v_lshrrev_b32_e32 v13, 8, v11
	v_bfe_u32 v14, v11, 20, 11
	v_sub_u32_e32 v15, 0x3f1, v12
	v_cndmask_b32_e64 v10, 0, 1, vcc
	v_and_or_b32 v7, v8, s16, v7
	v_sub_u32_e32 v17, 0x3f1, v14
	v_med3_i32 v8, v15, 0, 13
	v_and_or_b32 v10, v13, s16, v10
	v_or_b32_e32 v15, 0x1000, v7
	v_add_u32_e32 v12, 0xfffffc10, v12
	v_med3_i32 v13, v17, 0, 13
	v_cmp_ne_u32_e32 vcc, 0, v7
	v_or_b32_e32 v20, 0x1000, v10
	v_lshrrev_b32_e32 v22, v8, v15
	v_add_u32_e32 v14, 0xfffffc10, v14
	v_lshl_or_b32 v17, v12, 12, v7
	v_cndmask_b32_e64 v7, 0, 1, vcc
	v_cmp_ne_u32_e32 vcc, 0, v10
	v_lshrrev_b32_e32 v23, v13, v20
	v_lshlrev_b32_e32 v8, v8, v22
	v_lshl_or_b32 v21, v14, 12, v10
	v_cndmask_b32_e64 v10, 0, 1, vcc
	v_lshlrev_b32_e32 v13, v13, v23
	v_cmp_ne_u32_e32 vcc, v8, v15
	v_lshl_or_b32 v7, v7, 9, v6
	v_lshl_or_b32 v10, v10, 9, v6
	v_cndmask_b32_e64 v8, 0, 1, vcc
	v_cmp_ne_u32_e32 vcc, v13, v20
	v_or_b32_e32 v8, v22, v8
	v_and_b32_sdwa v9, v9, s15 dst_sel:DWORD dst_unused:UNUSED_PAD src0_sel:WORD_1 src1_sel:DWORD
	v_cndmask_b32_e64 v13, 0, 1, vcc
	v_cmp_gt_i32_e32 vcc, 1, v12
	v_or_b32_e32 v13, v23, v13
	v_lshrrev_b32_e32 v11, 16, v11
	v_cndmask_b32_e32 v8, v17, v8, vcc
	v_cmp_gt_i32_e32 vcc, 1, v14
	v_and_b32_e32 v15, 7, v8
	v_cmp_eq_u32_e64 s[0:1], 3, v15
	v_cndmask_b32_e32 v13, v21, v13, vcc
	v_cmp_lt_i32_e32 vcc, 5, v15
	v_lshrrev_b32_e32 v8, 2, v8
	v_and_b32_e32 v17, 7, v13
	s_or_b64 vcc, s[0:1], vcc
	v_cmp_lt_i32_e64 s[2:3], 5, v17
	v_cmp_eq_u32_e64 s[4:5], 3, v17
	v_addc_co_u32_e32 v8, vcc, 0, v8, vcc
	v_lshrrev_b32_e32 v13, 2, v13
	s_or_b64 vcc, s[4:5], s[2:3]
	v_addc_co_u32_e32 v13, vcc, 0, v13, vcc
	v_cmp_gt_i32_e32 vcc, 31, v12
	s_nop 1
	v_cndmask_b32_e32 v8, v6, v8, vcc
	v_cmp_gt_i32_e32 vcc, 31, v14
	s_nop 1
	v_cndmask_b32_e32 v13, v6, v13, vcc
	v_cmp_eq_u32_e32 vcc, s14, v12
	s_nop 1
	v_cndmask_b32_e32 v7, v8, v7, vcc
	v_cmp_eq_u32_e32 vcc, s14, v14
	v_bitop3_b32 v7, v9, s19, v7 bitop3:0xc8
	v_or_b32_e32 v14, 0x600, v18
	v_cndmask_b32_e32 v8, v13, v10, vcc
	v_and_or_b32 v8, v11, s15, v8
	v_lshl_or_b32 v7, v8, 16, v7
	global_store_dword v[4:5], v7, off
	global_load_dword v7, v[2:3], off offset:1652
	ds_read2_b32 v[8:9], v19 offset0:29 offset1:128
	v_lshl_add_u64 v[4:5], v[4:5], 0, s[10:11]
	v_lshlrev_b32_e32 v15, 2, v14
	s_waitcnt lgkmcnt(0)
	v_lshrrev_b32_e32 v10, 16, v8
	s_waitcnt vmcnt(0)
	v_mul_f16_sdwa v11, v10, v7 dst_sel:DWORD dst_unused:UNUSED_PAD src0_sel:DWORD src1_sel:WORD_1
	v_mul_f16_sdwa v12, v8, v7 dst_sel:DWORD dst_unused:UNUSED_PAD src0_sel:DWORD src1_sel:WORD_1
	v_fma_f16 v8, v8, v7, v11
	v_fma_f16 v7, v7, v10, -v12
	v_cvt_f32_f16_e32 v8, v8
	v_cvt_f32_f16_e32 v7, v7
	v_cvt_f64_f32_e32 v[10:11], v8
	v_cvt_f64_f32_e32 v[12:13], v7
	v_mul_f64 v[10:11], v[10:11], s[6:7]
	v_mul_f64 v[12:13], v[12:13], s[6:7]
	v_and_or_b32 v7, v11, s17, v10
	v_and_or_b32 v12, v13, s17, v12
	v_cmp_ne_u32_e32 vcc, 0, v7
	v_lshrrev_b32_e32 v8, 8, v11
	v_bfe_u32 v10, v11, 20, 11
	v_cndmask_b32_e64 v7, 0, 1, vcc
	v_cmp_ne_u32_e32 vcc, 0, v12
	v_lshrrev_b32_e32 v17, 8, v13
	v_bfe_u32 v18, v13, 20, 11
	v_sub_u32_e32 v19, 0x3f1, v10
	v_cndmask_b32_e64 v12, 0, 1, vcc
	v_and_or_b32 v7, v8, s16, v7
	v_sub_u32_e32 v20, 0x3f1, v18
	v_med3_i32 v8, v19, 0, 13
	v_and_or_b32 v12, v17, s16, v12
	v_or_b32_e32 v19, 0x1000, v7
	v_add_u32_e32 v10, 0xfffffc10, v10
	v_med3_i32 v17, v20, 0, 13
	v_cmp_ne_u32_e32 vcc, 0, v7
	v_or_b32_e32 v21, 0x1000, v12
	v_lshrrev_b32_e32 v23, v8, v19
	v_add_u32_e32 v18, 0xfffffc10, v18
	v_lshl_or_b32 v20, v10, 12, v7
	v_cndmask_b32_e64 v7, 0, 1, vcc
	v_cmp_ne_u32_e32 vcc, 0, v12
	v_lshrrev_b32_e32 v24, v17, v21
	v_lshlrev_b32_e32 v8, v8, v23
	v_lshl_or_b32 v22, v18, 12, v12
	v_cndmask_b32_e64 v12, 0, 1, vcc
	v_lshlrev_b32_e32 v17, v17, v24
	v_cmp_ne_u32_e32 vcc, v8, v19
	v_lshl_or_b32 v7, v7, 9, v6
	v_lshl_or_b32 v12, v12, 9, v6
	v_cndmask_b32_e64 v8, 0, 1, vcc
	v_cmp_ne_u32_e32 vcc, v17, v21
	v_or_b32_e32 v8, v23, v8
	v_and_b32_sdwa v11, v11, s15 dst_sel:DWORD dst_unused:UNUSED_PAD src0_sel:WORD_1 src1_sel:DWORD
	v_cndmask_b32_e64 v17, 0, 1, vcc
	v_cmp_gt_i32_e32 vcc, 1, v10
	v_or_b32_e32 v17, v24, v17
	v_lshrrev_b32_e32 v13, 16, v13
	v_cndmask_b32_e32 v8, v20, v8, vcc
	v_cmp_gt_i32_e32 vcc, 1, v18
	v_and_b32_e32 v19, 7, v8
	v_cmp_eq_u32_e64 s[0:1], 3, v19
	v_cndmask_b32_e32 v17, v22, v17, vcc
	v_cmp_lt_i32_e32 vcc, 5, v19
	v_lshrrev_b32_e32 v8, 2, v8
	v_and_b32_e32 v20, 7, v17
	s_or_b64 vcc, s[0:1], vcc
	v_cmp_lt_i32_e64 s[2:3], 5, v20
	v_cmp_eq_u32_e64 s[4:5], 3, v20
	v_addc_co_u32_e32 v8, vcc, 0, v8, vcc
	v_lshrrev_b32_e32 v17, 2, v17
	s_or_b64 vcc, s[4:5], s[2:3]
	v_addc_co_u32_e32 v17, vcc, 0, v17, vcc
	v_cmp_gt_i32_e32 vcc, 31, v10
	s_nop 1
	v_cndmask_b32_e32 v8, v6, v8, vcc
	v_cmp_gt_i32_e32 vcc, 31, v18
	s_nop 1
	v_cndmask_b32_e32 v17, v6, v17, vcc
	v_cmp_eq_u32_e32 vcc, s14, v10
	s_nop 1
	v_cndmask_b32_e32 v7, v8, v7, vcc
	v_cmp_eq_u32_e32 vcc, s14, v18
	v_bitop3_b32 v7, v11, s19, v7 bitop3:0xc8
	v_mad_u64_u32 v[10:11], s[0:1], s8, v14, 0
	v_cndmask_b32_e32 v8, v17, v12, vcc
	v_and_or_b32 v8, v13, s15, v8
	v_lshl_or_b32 v7, v8, 16, v7
	global_store_dword v[4:5], v7, off
	global_load_dword v7, v15, s[12:13]
	v_mov_b32_e32 v8, v11
	v_mad_u64_u32 v[12:13], s[0:1], s9, v14, v[8:9]
	v_lshrrev_b32_e32 v8, 16, v9
	s_mulk_i32 s9, 0x318
	s_waitcnt vmcnt(0)
	v_mul_f16_sdwa v11, v8, v7 dst_sel:DWORD dst_unused:UNUSED_PAD src0_sel:DWORD src1_sel:WORD_1
	v_mul_f16_sdwa v13, v9, v7 dst_sel:DWORD dst_unused:UNUSED_PAD src0_sel:DWORD src1_sel:WORD_1
	v_fma_f16 v9, v9, v7, v11
	v_fma_f16 v7, v7, v8, -v13
	v_cvt_f32_f16_e32 v8, v9
	v_cvt_f32_f16_e32 v7, v7
	v_mov_b32_e32 v11, v12
	v_lshl_add_u64 v[0:1], v[10:11], 2, v[0:1]
	v_cvt_f64_f32_e32 v[8:9], v8
	v_cvt_f64_f32_e32 v[10:11], v7
	v_mul_f64 v[8:9], v[8:9], s[6:7]
	v_mul_f64 v[10:11], v[10:11], s[6:7]
	v_and_or_b32 v7, v9, s17, v8
	v_and_or_b32 v10, v11, s17, v10
	v_cmp_ne_u32_e32 vcc, 0, v7
	v_lshrrev_b32_e32 v8, 8, v9
	v_bfe_u32 v12, v9, 20, 11
	v_cndmask_b32_e64 v7, 0, 1, vcc
	v_cmp_ne_u32_e32 vcc, 0, v10
	v_lshrrev_b32_e32 v13, 8, v11
	v_bfe_u32 v14, v11, 20, 11
	v_sub_u32_e32 v15, 0x3f1, v12
	v_cndmask_b32_e64 v10, 0, 1, vcc
	v_and_or_b32 v7, v8, s16, v7
	v_sub_u32_e32 v17, 0x3f1, v14
	v_med3_i32 v8, v15, 0, 13
	v_and_or_b32 v10, v13, s16, v10
	v_or_b32_e32 v15, 0x1000, v7
	v_add_u32_e32 v12, 0xfffffc10, v12
	v_med3_i32 v13, v17, 0, 13
	v_cmp_ne_u32_e32 vcc, 0, v7
	v_or_b32_e32 v18, 0x1000, v10
	v_lshrrev_b32_e32 v20, v8, v15
	v_add_u32_e32 v14, 0xfffffc10, v14
	v_lshl_or_b32 v17, v12, 12, v7
	v_cndmask_b32_e64 v7, 0, 1, vcc
	v_cmp_ne_u32_e32 vcc, 0, v10
	v_lshrrev_b32_e32 v21, v13, v18
	v_lshlrev_b32_e32 v8, v8, v20
	v_lshl_or_b32 v19, v14, 12, v10
	v_cndmask_b32_e64 v10, 0, 1, vcc
	v_lshlrev_b32_e32 v13, v13, v21
	v_cmp_ne_u32_e32 vcc, v8, v15
	v_lshl_or_b32 v7, v7, 9, v6
	v_lshl_or_b32 v10, v10, 9, v6
	v_cndmask_b32_e64 v8, 0, 1, vcc
	v_cmp_ne_u32_e32 vcc, v13, v18
	v_or_b32_e32 v8, v20, v8
	v_and_b32_sdwa v9, v9, s15 dst_sel:DWORD dst_unused:UNUSED_PAD src0_sel:WORD_1 src1_sel:DWORD
	v_cndmask_b32_e64 v13, 0, 1, vcc
	v_cmp_gt_i32_e32 vcc, 1, v12
	v_or_b32_e32 v13, v21, v13
	v_lshrrev_b32_e32 v11, 16, v11
	v_cndmask_b32_e32 v8, v17, v8, vcc
	v_cmp_gt_i32_e32 vcc, 1, v14
	v_and_b32_e32 v15, 7, v8
	v_cmp_eq_u32_e64 s[0:1], 3, v15
	v_cndmask_b32_e32 v13, v19, v13, vcc
	v_cmp_lt_i32_e32 vcc, 5, v15
	v_lshrrev_b32_e32 v8, 2, v8
	v_and_b32_e32 v17, 7, v13
	s_or_b64 vcc, s[0:1], vcc
	v_cmp_lt_i32_e64 s[2:3], 5, v17
	v_cmp_eq_u32_e64 s[4:5], 3, v17
	v_addc_co_u32_e32 v8, vcc, 0, v8, vcc
	v_lshrrev_b32_e32 v13, 2, v13
	s_or_b64 vcc, s[4:5], s[2:3]
	v_addc_co_u32_e32 v13, vcc, 0, v13, vcc
	v_cmp_gt_i32_e32 vcc, 31, v12
	s_nop 1
	v_cndmask_b32_e32 v8, v6, v8, vcc
	v_cmp_gt_i32_e32 vcc, 31, v14
	s_nop 1
	v_cndmask_b32_e32 v13, v6, v13, vcc
	v_cmp_eq_u32_e32 vcc, s14, v12
	s_nop 1
	v_cndmask_b32_e32 v7, v8, v7, vcc
	v_cmp_eq_u32_e32 vcc, s14, v14
	v_bitop3_b32 v7, v9, s19, v7 bitop3:0xc8
	s_nop 0
	v_cndmask_b32_e32 v8, v13, v10, vcc
	v_and_or_b32 v8, v11, s15, v8
	v_lshl_or_b32 v7, v8, 16, v7
	global_store_dword v[0:1], v7, off
	global_load_dword v0, v[2:3], off offset:2444
	ds_read_b32 v1, v16 offset:6540
	v_mov_b32_e32 v2, 0x318
	s_waitcnt lgkmcnt(0)
	v_lshrrev_b32_e32 v3, 16, v1
	s_waitcnt vmcnt(0)
	v_mul_f16_sdwa v7, v3, v0 dst_sel:DWORD dst_unused:UNUSED_PAD src0_sel:DWORD src1_sel:WORD_1
	v_mul_f16_sdwa v8, v1, v0 dst_sel:DWORD dst_unused:UNUSED_PAD src0_sel:DWORD src1_sel:WORD_1
	v_fma_f16 v1, v1, v0, v7
	v_fma_f16 v0, v0, v3, -v8
	v_cvt_f32_f16_e32 v3, v1
	v_cvt_f32_f16_e32 v7, v0
	v_mad_u64_u32 v[0:1], s[0:1], s8, v2, v[4:5]
	v_cvt_f64_f32_e32 v[2:3], v3
	v_cvt_f64_f32_e32 v[4:5], v7
	v_mul_f64 v[2:3], v[2:3], s[6:7]
	v_mul_f64 v[4:5], v[4:5], s[6:7]
	v_and_or_b32 v2, v3, s17, v2
	v_and_or_b32 v4, v5, s17, v4
	v_cmp_ne_u32_e32 vcc, 0, v2
	v_lshrrev_b32_e32 v7, 8, v3
	v_bfe_u32 v8, v3, 20, 11
	v_cndmask_b32_e64 v2, 0, 1, vcc
	v_cmp_ne_u32_e32 vcc, 0, v4
	v_lshrrev_b32_e32 v9, 8, v5
	v_bfe_u32 v10, v5, 20, 11
	v_sub_u32_e32 v11, 0x3f1, v8
	v_cndmask_b32_e64 v4, 0, 1, vcc
	v_and_or_b32 v2, v7, s16, v2
	v_sub_u32_e32 v12, 0x3f1, v10
	v_med3_i32 v7, v11, 0, 13
	v_and_or_b32 v4, v9, s16, v4
	v_or_b32_e32 v11, 0x1000, v2
	v_add_u32_e32 v8, 0xfffffc10, v8
	v_med3_i32 v9, v12, 0, 13
	v_cmp_ne_u32_e32 vcc, 0, v2
	v_or_b32_e32 v13, 0x1000, v4
	v_lshrrev_b32_e32 v15, v7, v11
	v_add_u32_e32 v10, 0xfffffc10, v10
	v_lshl_or_b32 v12, v8, 12, v2
	v_cndmask_b32_e64 v2, 0, 1, vcc
	v_cmp_ne_u32_e32 vcc, 0, v4
	v_lshrrev_b32_e32 v16, v9, v13
	v_lshlrev_b32_e32 v7, v7, v15
	v_lshl_or_b32 v14, v10, 12, v4
	v_cndmask_b32_e64 v4, 0, 1, vcc
	v_lshlrev_b32_e32 v9, v9, v16
	v_cmp_ne_u32_e32 vcc, v7, v11
	v_lshl_or_b32 v2, v2, 9, v6
	v_lshl_or_b32 v4, v4, 9, v6
	v_cndmask_b32_e64 v7, 0, 1, vcc
	v_cmp_ne_u32_e32 vcc, v9, v13
	v_or_b32_e32 v7, v15, v7
	v_and_b32_sdwa v3, v3, s15 dst_sel:DWORD dst_unused:UNUSED_PAD src0_sel:WORD_1 src1_sel:DWORD
	v_cndmask_b32_e64 v9, 0, 1, vcc
	v_cmp_gt_i32_e32 vcc, 1, v8
	v_or_b32_e32 v9, v16, v9
	v_lshrrev_b32_e32 v5, 16, v5
	v_cndmask_b32_e32 v7, v12, v7, vcc
	v_cmp_gt_i32_e32 vcc, 1, v10
	v_and_b32_e32 v11, 7, v7
	v_cmp_eq_u32_e64 s[0:1], 3, v11
	v_cndmask_b32_e32 v9, v14, v9, vcc
	v_cmp_lt_i32_e32 vcc, 5, v11
	v_lshrrev_b32_e32 v7, 2, v7
	v_and_b32_e32 v12, 7, v9
	s_or_b64 vcc, s[0:1], vcc
	v_cmp_lt_i32_e64 s[2:3], 5, v12
	v_cmp_eq_u32_e64 s[4:5], 3, v12
	v_addc_co_u32_e32 v7, vcc, 0, v7, vcc
	v_lshrrev_b32_e32 v9, 2, v9
	s_or_b64 vcc, s[4:5], s[2:3]
	v_addc_co_u32_e32 v9, vcc, 0, v9, vcc
	v_cmp_gt_i32_e32 vcc, 31, v8
	v_add_u32_e32 v1, s9, v1
	s_nop 0
	v_cndmask_b32_e32 v7, v6, v7, vcc
	v_cmp_gt_i32_e32 vcc, 31, v10
	s_nop 1
	v_cndmask_b32_e32 v6, v6, v9, vcc
	v_cmp_eq_u32_e32 vcc, s14, v8
	s_nop 1
	v_cndmask_b32_e32 v2, v7, v2, vcc
	v_cmp_eq_u32_e32 vcc, s14, v10
	v_bitop3_b32 v2, v3, s19, v2 bitop3:0xc8
	s_nop 0
	v_cndmask_b32_e32 v4, v6, v4, vcc
	v_and_or_b32 v4, v5, s15, v4
	v_lshl_or_b32 v2, v4, 16, v2
	global_store_dword v[0:1], v2, off
.LBB0_15:
	s_endpgm
	.section	.rodata,"a",@progbits
	.p2align	6, 0x0
	.amdhsa_kernel bluestein_single_fwd_len1683_dim1_half_op_CI_CI
		.amdhsa_group_segment_fixed_size 6732
		.amdhsa_private_segment_fixed_size 0
		.amdhsa_kernarg_size 104
		.amdhsa_user_sgpr_count 2
		.amdhsa_user_sgpr_dispatch_ptr 0
		.amdhsa_user_sgpr_queue_ptr 0
		.amdhsa_user_sgpr_kernarg_segment_ptr 1
		.amdhsa_user_sgpr_dispatch_id 0
		.amdhsa_user_sgpr_kernarg_preload_length 0
		.amdhsa_user_sgpr_kernarg_preload_offset 0
		.amdhsa_user_sgpr_private_segment_size 0
		.amdhsa_uses_dynamic_stack 0
		.amdhsa_enable_private_segment 0
		.amdhsa_system_sgpr_workgroup_id_x 1
		.amdhsa_system_sgpr_workgroup_id_y 0
		.amdhsa_system_sgpr_workgroup_id_z 0
		.amdhsa_system_sgpr_workgroup_info 0
		.amdhsa_system_vgpr_workitem_id 0
		.amdhsa_next_free_vgpr 266
		.amdhsa_next_free_sgpr 37
		.amdhsa_accum_offset 256
		.amdhsa_reserve_vcc 1
		.amdhsa_float_round_mode_32 0
		.amdhsa_float_round_mode_16_64 0
		.amdhsa_float_denorm_mode_32 3
		.amdhsa_float_denorm_mode_16_64 3
		.amdhsa_dx10_clamp 1
		.amdhsa_ieee_mode 1
		.amdhsa_fp16_overflow 0
		.amdhsa_tg_split 0
		.amdhsa_exception_fp_ieee_invalid_op 0
		.amdhsa_exception_fp_denorm_src 0
		.amdhsa_exception_fp_ieee_div_zero 0
		.amdhsa_exception_fp_ieee_overflow 0
		.amdhsa_exception_fp_ieee_underflow 0
		.amdhsa_exception_fp_ieee_inexact 0
		.amdhsa_exception_int_div_zero 0
	.end_amdhsa_kernel
	.text
.Lfunc_end0:
	.size	bluestein_single_fwd_len1683_dim1_half_op_CI_CI, .Lfunc_end0-bluestein_single_fwd_len1683_dim1_half_op_CI_CI
                                        ; -- End function
	.section	.AMDGPU.csdata,"",@progbits
; Kernel info:
; codeLenInByte = 68948
; NumSgprs: 43
; NumVgprs: 256
; NumAgprs: 10
; TotalNumVgprs: 266
; ScratchSize: 0
; MemoryBound: 0
; FloatMode: 240
; IeeeMode: 1
; LDSByteSize: 6732 bytes/workgroup (compile time only)
; SGPRBlocks: 5
; VGPRBlocks: 33
; NumSGPRsForWavesPerEU: 43
; NumVGPRsForWavesPerEU: 266
; AccumOffset: 256
; Occupancy: 1
; WaveLimiterHint : 1
; COMPUTE_PGM_RSRC2:SCRATCH_EN: 0
; COMPUTE_PGM_RSRC2:USER_SGPR: 2
; COMPUTE_PGM_RSRC2:TRAP_HANDLER: 0
; COMPUTE_PGM_RSRC2:TGID_X_EN: 1
; COMPUTE_PGM_RSRC2:TGID_Y_EN: 0
; COMPUTE_PGM_RSRC2:TGID_Z_EN: 0
; COMPUTE_PGM_RSRC2:TIDIG_COMP_CNT: 0
; COMPUTE_PGM_RSRC3_GFX90A:ACCUM_OFFSET: 63
; COMPUTE_PGM_RSRC3_GFX90A:TG_SPLIT: 0
	.text
	.p2alignl 6, 3212836864
	.fill 256, 4, 3212836864
	.type	__hip_cuid_1577d38ac1daf9e9,@object ; @__hip_cuid_1577d38ac1daf9e9
	.section	.bss,"aw",@nobits
	.globl	__hip_cuid_1577d38ac1daf9e9
__hip_cuid_1577d38ac1daf9e9:
	.byte	0                               ; 0x0
	.size	__hip_cuid_1577d38ac1daf9e9, 1

	.ident	"AMD clang version 19.0.0git (https://github.com/RadeonOpenCompute/llvm-project roc-6.4.0 25133 c7fe45cf4b819c5991fe208aaa96edf142730f1d)"
	.section	".note.GNU-stack","",@progbits
	.addrsig
	.addrsig_sym __hip_cuid_1577d38ac1daf9e9
	.amdgpu_metadata
---
amdhsa.kernels:
  - .agpr_count:     10
    .args:
      - .actual_access:  read_only
        .address_space:  global
        .offset:         0
        .size:           8
        .value_kind:     global_buffer
      - .actual_access:  read_only
        .address_space:  global
        .offset:         8
        .size:           8
        .value_kind:     global_buffer
      - .actual_access:  read_only
        .address_space:  global
        .offset:         16
        .size:           8
        .value_kind:     global_buffer
      - .actual_access:  read_only
        .address_space:  global
        .offset:         24
        .size:           8
        .value_kind:     global_buffer
      - .actual_access:  read_only
        .address_space:  global
        .offset:         32
        .size:           8
        .value_kind:     global_buffer
      - .offset:         40
        .size:           8
        .value_kind:     by_value
      - .address_space:  global
        .offset:         48
        .size:           8
        .value_kind:     global_buffer
      - .address_space:  global
        .offset:         56
        .size:           8
        .value_kind:     global_buffer
      - .address_space:  global
        .offset:         64
        .size:           8
        .value_kind:     global_buffer
      - .address_space:  global
        .offset:         72
        .size:           8
        .value_kind:     global_buffer
      - .offset:         80
        .size:           4
        .value_kind:     by_value
      - .address_space:  global
        .offset:         88
        .size:           8
        .value_kind:     global_buffer
      - .address_space:  global
        .offset:         96
        .size:           8
        .value_kind:     global_buffer
    .group_segment_fixed_size: 6732
    .kernarg_segment_align: 8
    .kernarg_segment_size: 104
    .language:       OpenCL C
    .language_version:
      - 2
      - 0
    .max_flat_workgroup_size: 51
    .name:           bluestein_single_fwd_len1683_dim1_half_op_CI_CI
    .private_segment_fixed_size: 0
    .sgpr_count:     43
    .sgpr_spill_count: 0
    .symbol:         bluestein_single_fwd_len1683_dim1_half_op_CI_CI.kd
    .uniform_work_group_size: 1
    .uses_dynamic_stack: false
    .vgpr_count:     266
    .vgpr_spill_count: 0
    .wavefront_size: 64
amdhsa.target:   amdgcn-amd-amdhsa--gfx950
amdhsa.version:
  - 1
  - 2
...

	.end_amdgpu_metadata
